;; amdgpu-corpus repo=ROCm/rocFFT kind=compiled arch=gfx1201 opt=O3
	.text
	.amdgcn_target "amdgcn-amd-amdhsa--gfx1201"
	.amdhsa_code_object_version 6
	.protected	bluestein_single_fwd_len1960_dim1_dp_op_CI_CI ; -- Begin function bluestein_single_fwd_len1960_dim1_dp_op_CI_CI
	.globl	bluestein_single_fwd_len1960_dim1_dp_op_CI_CI
	.p2align	8
	.type	bluestein_single_fwd_len1960_dim1_dp_op_CI_CI,@function
bluestein_single_fwd_len1960_dim1_dp_op_CI_CI: ; @bluestein_single_fwd_len1960_dim1_dp_op_CI_CI
; %bb.0:
	s_load_b128 s[12:15], s[0:1], 0x28
	v_mul_u32_u24_e32 v1, 0x493, v0
	s_mov_b32 s2, exec_lo
	v_mov_b32_e32 v5, 0
	s_delay_alu instid0(VALU_DEP_2) | instskip(NEXT) | instid1(VALU_DEP_1)
	v_lshrrev_b32_e32 v1, 16, v1
	v_add_nc_u32_e32 v4, ttmp9, v1
	s_wait_kmcnt 0x0
	s_delay_alu instid0(VALU_DEP_1)
	v_cmpx_gt_u64_e64 s[12:13], v[4:5]
	s_cbranch_execz .LBB0_23
; %bb.1:
	s_clause 0x1
	s_load_b128 s[4:7], s[0:1], 0x18
	s_load_b64 s[12:13], s[0:1], 0x0
	v_mul_lo_u16 v1, v1, 56
	v_mov_b32_e32 v5, v4
	s_delay_alu instid0(VALU_DEP_2) | instskip(SKIP_2) | instid1(VALU_DEP_1)
	v_sub_nc_u16 v0, v0, v1
	scratch_store_b64 off, v[5:6], off offset:44 ; 8-byte Folded Spill
	v_and_b32_e32 v136, 0xffff, v0
	v_lshlrev_b32_e32 v176, 4, v136
	s_wait_kmcnt 0x0
	s_load_b128 s[8:11], s[4:5], 0x0
	s_wait_kmcnt 0x0
	v_mad_co_u64_u32 v[0:1], null, s10, v4, 0
	v_mad_co_u64_u32 v[2:3], null, s8, v136, 0
	s_mul_u64 s[2:3], s[8:9], 0x1ea
	s_delay_alu instid0(VALU_DEP_1) | instskip(SKIP_1) | instid1(VALU_DEP_1)
	v_mad_co_u64_u32 v[4:5], null, s11, v4, v[1:2]
	s_load_b64 s[10:11], s[0:1], 0x38
	v_mad_co_u64_u32 v[5:6], null, s9, v136, v[3:4]
	v_mov_b32_e32 v1, v4
	s_delay_alu instid0(VALU_DEP_1) | instskip(NEXT) | instid1(VALU_DEP_3)
	v_lshlrev_b64_e32 v[0:1], 4, v[0:1]
	v_mov_b32_e32 v3, v5
	s_delay_alu instid0(VALU_DEP_2) | instskip(NEXT) | instid1(VALU_DEP_2)
	v_add_co_u32 v46, vcc_lo, s14, v0
	v_lshlrev_b64_e32 v[2:3], 4, v[2:3]
	s_delay_alu instid0(VALU_DEP_4) | instskip(SKIP_3) | instid1(VALU_DEP_2)
	v_add_co_ci_u32_e32 v47, vcc_lo, s15, v1, vcc_lo
	s_lshl_b64 s[14:15], s[2:3], 4
	s_movk_i32 s2, 0xa7a0
	s_mov_b32 s3, -1
	v_add_co_u32 v4, vcc_lo, v46, v2
	s_wait_alu 0xfffd
	v_add_co_ci_u32_e32 v5, vcc_lo, v47, v3, vcc_lo
	global_load_b128 v[84:87], v176, s[12:13]
	global_load_b128 v[0:3], v[4:5], off
	s_wait_alu 0xfffe
	v_add_co_u32 v4, vcc_lo, v4, s14
	s_wait_alu 0xfffd
	v_add_co_ci_u32_e32 v5, vcc_lo, s15, v5, vcc_lo
	s_mul_u64 s[2:3], s[8:9], s[2:3]
	s_delay_alu instid0(VALU_DEP_2) | instskip(SKIP_1) | instid1(VALU_DEP_2)
	v_add_co_u32 v12, vcc_lo, v4, s14
	s_wait_alu 0xfffd
	v_add_co_ci_u32_e32 v13, vcc_lo, s15, v5, vcc_lo
	global_load_b128 v[80:83], v176, s[12:13] offset:7840
	global_load_b128 v[4:7], v[4:5], off
	global_load_b128 v[76:79], v176, s[12:13] offset:15680
	global_load_b128 v[8:11], v[12:13], off
	v_add_co_u32 v12, vcc_lo, v12, s14
	s_wait_alu 0xfffd
	v_add_co_ci_u32_e32 v13, vcc_lo, s15, v13, vcc_lo
	global_load_b128 v[92:95], v176, s[12:13] offset:23520
	v_add_co_u32 v20, vcc_lo, v12, s2
	s_wait_alu 0xfffd
	v_add_co_ci_u32_e32 v21, vcc_lo, s3, v13, vcc_lo
	global_load_b128 v[12:15], v[12:13], off
	global_load_b128 v[96:99], v176, s[12:13] offset:896
	global_load_b128 v[16:19], v[20:21], off
	v_add_co_u32 v20, vcc_lo, v20, s14
	s_wait_alu 0xfffd
	v_add_co_ci_u32_e32 v21, vcc_lo, s15, v21, vcc_lo
	global_load_b128 v[100:103], v176, s[12:13] offset:8736
	v_add_co_u32 v28, vcc_lo, v20, s14
	s_wait_alu 0xfffd
	v_add_co_ci_u32_e32 v29, vcc_lo, s15, v21, vcc_lo
	;; [unrolled: 10-line block ×4, first 2 shown]
	global_load_b128 v[32:35], v[32:33], off
	global_load_b128 v[60:63], v176, s[12:13] offset:17472
	global_load_b128 v[40:43], v[44:45], off
	v_add_co_u32 v44, vcc_lo, v44, s14
	s_wait_alu 0xfffd
	v_add_co_ci_u32_e32 v45, vcc_lo, s15, v45, vcc_lo
	s_wait_loadcnt 0x15
	scratch_store_b128 off, v[84:87], off offset:164 ; 16-byte Folded Spill
	s_wait_loadcnt 0x14
	v_mul_f64_e32 v[48:49], v[2:3], v[86:87]
	v_mul_f64_e32 v[50:51], v[0:1], v[86:87]
	s_wait_loadcnt 0x13
	scratch_store_b128 off, v[80:83], off offset:132 ; 16-byte Folded Spill
	s_wait_loadcnt 0x12
	v_mul_f64_e32 v[52:53], v[6:7], v[82:83]
	s_wait_loadcnt 0x11
	scratch_store_b128 off, v[76:79], off offset:116 ; 16-byte Folded Spill
	v_mul_f64_e32 v[54:55], v[4:5], v[82:83]
	s_wait_loadcnt 0x10
	v_mul_f64_e32 v[56:57], v[10:11], v[78:79]
	s_wait_loadcnt 0xf
	scratch_store_b128 off, v[92:95], off offset:196 ; 16-byte Folded Spill
	s_wait_loadcnt 0xe
	v_mul_f64_e32 v[58:59], v[14:15], v[94:95]
	s_wait_loadcnt 0xd
	scratch_store_b128 off, v[96:99], off offset:228 ; 16-byte Folded Spill
	s_wait_loadcnt 0x9
	scratch_store_b128 off, v[68:71], off offset:84 ; 16-byte Folded Spill
	;; [unrolled: 2-line block ×3, first 2 shown]
	v_fma_f64 v[48:49], v[0:1], v[84:85], v[48:49]
	v_fma_f64 v[50:51], v[2:3], v[84:85], -v[50:51]
	v_mul_f64_e32 v[0:1], v[8:9], v[78:79]
	s_wait_loadcnt 0x5
	scratch_store_b128 off, v[88:91], off offset:180 ; 16-byte Folded Spill
	v_fma_f64 v[2:3], v[4:5], v[80:81], v[52:53]
	v_mul_f64_e32 v[52:53], v[12:13], v[94:95]
	v_fma_f64 v[4:5], v[6:7], v[80:81], -v[54:55]
	v_mul_f64_e32 v[54:55], v[18:19], v[98:99]
	v_fma_f64 v[6:7], v[8:9], v[76:77], v[56:57]
	v_mul_f64_e32 v[56:57], v[22:23], v[102:103]
	s_wait_loadcnt 0x3
	scratch_store_b128 off, v[64:67], off offset:68 ; 16-byte Folded Spill
	s_wait_loadcnt 0x1
	scratch_store_b128 off, v[60:63], off offset:52 ; 16-byte Folded Spill
	v_fma_f64 v[8:9], v[10:11], v[76:77], -v[0:1]
	v_mul_f64_e32 v[0:1], v[16:17], v[98:99]
	v_fma_f64 v[10:11], v[12:13], v[92:93], v[58:59]
	v_mul_f64_e32 v[58:59], v[26:27], v[70:71]
	v_fma_f64 v[12:13], v[14:15], v[92:93], -v[52:53]
	v_mul_f64_e32 v[52:53], v[20:21], v[102:103]
	v_fma_f64 v[14:15], v[16:17], v[96:97], v[54:55]
	v_mul_f64_e32 v[54:55], v[30:31], v[74:75]
	;; [unrolled: 4-line block ×4, first 2 shown]
	v_fma_f64 v[24:25], v[26:27], v[68:69], -v[0:1]
	v_mul_f64_e32 v[0:1], v[36:37], v[90:91]
	v_fma_f64 v[26:27], v[28:29], v[72:73], v[54:55]
	s_wait_loadcnt 0x0
	v_mul_f64_e32 v[54:55], v[42:43], v[62:63]
	v_fma_f64 v[36:37], v[36:37], v[88:89], v[56:57]
	v_fma_f64 v[28:29], v[30:31], v[72:73], -v[52:53]
	v_mul_f64_e32 v[52:53], v[32:33], v[66:67]
	v_fma_f64 v[30:31], v[32:33], v[64:65], v[58:59]
	global_load_b128 v[56:59], v176, s[12:13] offset:25312
	scratch_store_b128 off, v[100:103], off offset:292 ; 16-byte Folded Spill
	v_fma_f64 v[38:39], v[38:39], v[88:89], -v[0:1]
	v_mul_f64_e32 v[0:1], v[40:41], v[62:63]
	v_fma_f64 v[40:41], v[40:41], v[60:61], v[54:55]
	v_fma_f64 v[32:33], v[34:35], v[64:65], -v[52:53]
	global_load_b128 v[52:55], v[44:45], off
	v_fma_f64 v[42:43], v[42:43], v[60:61], -v[0:1]
	s_wait_loadcnt 0x1
	scratch_store_b128 off, v[56:59], off offset:468 ; 16-byte Folded Spill
	s_wait_loadcnt 0x0
	v_mul_f64_e32 v[0:1], v[54:55], v[58:59]
	v_mul_f64_e32 v[34:35], v[52:53], v[58:59]
	s_delay_alu instid0(VALU_DEP_2) | instskip(SKIP_3) | instid1(VALU_DEP_4)
	v_fma_f64 v[52:53], v[52:53], v[56:57], v[0:1]
	v_add_co_u32 v0, vcc_lo, v44, s2
	s_wait_alu 0xfffd
	v_add_co_ci_u32_e32 v1, vcc_lo, s3, v45, vcc_lo
	v_fma_f64 v[54:55], v[54:55], v[56:57], -v[34:35]
	global_load_b128 v[60:63], v176, s[12:13] offset:2688
	global_load_b128 v[56:59], v[0:1], off
	v_add_co_u32 v0, vcc_lo, v0, s14
	s_wait_alu 0xfffd
	v_add_co_ci_u32_e32 v1, vcc_lo, s15, v1, vcc_lo
	s_wait_loadcnt 0x1
	scratch_store_b128 off, v[60:63], off offset:484 ; 16-byte Folded Spill
	s_wait_loadcnt 0x0
	v_mul_f64_e32 v[34:35], v[58:59], v[62:63]
	v_mul_f64_e32 v[44:45], v[56:57], v[62:63]
	s_delay_alu instid0(VALU_DEP_2) | instskip(NEXT) | instid1(VALU_DEP_2)
	v_fma_f64 v[56:57], v[56:57], v[60:61], v[34:35]
	v_fma_f64 v[58:59], v[58:59], v[60:61], -v[44:45]
	global_load_b128 v[64:67], v176, s[12:13] offset:10528
	global_load_b128 v[60:63], v[0:1], off
	v_add_co_u32 v0, vcc_lo, v0, s14
	s_wait_alu 0xfffd
	v_add_co_ci_u32_e32 v1, vcc_lo, s15, v1, vcc_lo
	s_wait_loadcnt 0x1
	scratch_store_b128 off, v[64:67], off offset:500 ; 16-byte Folded Spill
	s_wait_loadcnt 0x0
	v_mul_f64_e32 v[34:35], v[62:63], v[66:67]
	v_mul_f64_e32 v[44:45], v[60:61], v[66:67]
	s_delay_alu instid0(VALU_DEP_2) | instskip(NEXT) | instid1(VALU_DEP_2)
	v_fma_f64 v[60:61], v[60:61], v[64:65], v[34:35]
	;; [unrolled: 13-line block ×15, first 2 shown]
	v_fma_f64 v[114:115], v[114:115], v[116:117], -v[44:45]
	global_load_b128 v[120:123], v176, s[12:13] offset:28896
	global_load_b128 v[116:119], v[0:1], off
	v_add_co_u32 v0, vcc_lo, v0, s2
	s_wait_alu 0xfffd
	v_add_co_ci_u32_e32 v1, vcc_lo, s3, v1, vcc_lo
	s_mov_b32 s2, 0
	s_wait_loadcnt 0x1
	scratch_store_b128 off, v[120:123], off offset:324 ; 16-byte Folded Spill
	s_wait_loadcnt 0x0
	v_mul_f64_e32 v[34:35], v[118:119], v[122:123]
	v_mul_f64_e32 v[44:45], v[116:117], v[122:123]
	s_delay_alu instid0(VALU_DEP_2) | instskip(NEXT) | instid1(VALU_DEP_2)
	v_fma_f64 v[116:117], v[116:117], v[120:121], v[34:35]
	v_fma_f64 v[118:119], v[118:119], v[120:121], -v[44:45]
	global_load_b128 v[124:127], v176, s[12:13] offset:6272
	global_load_b128 v[120:123], v[0:1], off
	v_add_co_u32 v0, vcc_lo, v0, s14
	s_wait_alu 0xfffd
	v_add_co_ci_u32_e32 v1, vcc_lo, s15, v1, vcc_lo
	s_wait_loadcnt 0x1
	scratch_store_b128 off, v[124:127], off offset:340 ; 16-byte Folded Spill
	s_wait_loadcnt 0x0
	v_mul_f64_e32 v[34:35], v[122:123], v[126:127]
	v_mul_f64_e32 v[44:45], v[120:121], v[126:127]
	s_delay_alu instid0(VALU_DEP_2) | instskip(NEXT) | instid1(VALU_DEP_2)
	v_fma_f64 v[120:121], v[120:121], v[124:125], v[34:35]
	v_fma_f64 v[122:123], v[122:123], v[124:125], -v[44:45]
	global_load_b128 v[128:131], v176, s[12:13] offset:14112
	global_load_b128 v[124:127], v[0:1], off
	v_add_co_u32 v0, vcc_lo, v0, s14
	s_wait_alu 0xfffd
	v_add_co_ci_u32_e32 v1, vcc_lo, s15, v1, vcc_lo
	;; [unrolled: 13-line block ×3, first 2 shown]
	s_wait_loadcnt 0x1
	scratch_store_b128 off, v[132:135], off offset:372 ; 16-byte Folded Spill
	s_wait_loadcnt 0x0
	v_mul_f64_e32 v[34:35], v[130:131], v[134:135]
	v_mul_f64_e32 v[44:45], v[128:129], v[134:135]
	s_delay_alu instid0(VALU_DEP_2) | instskip(NEXT) | instid1(VALU_DEP_2)
	v_fma_f64 v[128:129], v[128:129], v[132:133], v[34:35]
	v_fma_f64 v[130:131], v[130:131], v[132:133], -v[44:45]
	global_load_b128 v[137:140], v176, s[12:13] offset:29792
	global_load_b128 v[132:135], v[0:1], off
	s_wait_loadcnt 0x1
	scratch_store_b128 off, v[137:140], off offset:388 ; 16-byte Folded Spill
	s_wait_loadcnt 0x0
	v_mul_f64_e32 v[34:35], v[134:135], v[139:140]
	v_mul_f64_e32 v[44:45], v[132:133], v[139:140]
	s_delay_alu instid0(VALU_DEP_2) | instskip(NEXT) | instid1(VALU_DEP_2)
	v_fma_f64 v[132:133], v[132:133], v[137:138], v[34:35]
	v_fma_f64 v[134:135], v[134:135], v[137:138], -v[44:45]
	ds_store_b128 v176, v[48:51]
	ds_store_b128 v176, v[2:5] offset:7840
	ds_store_b128 v176, v[6:9] offset:15680
	;; [unrolled: 1-line block ×31, first 2 shown]
	s_load_b128 s[4:7], s[6:7], 0x0
	v_or_b32_e32 v3, 0x1c0, v136
	v_mov_b32_e32 v4, s2
	s_delay_alu instid0(VALU_DEP_2)
	v_mov_b32_e32 v2, v3
	scratch_store_b32 off, v136, off        ; 4-byte Folded Spill
	v_cmp_gt_u64_e32 vcc_lo, 0x1ea, v[3:4]
	scratch_store_b64 off, v[2:3], off offset:4 ; 8-byte Folded Spill
	v_add_co_u32 v2, s2, s12, v176
	s_wait_alu 0xf1ff
	v_add_co_ci_u32_e64 v3, null, s13, 0, s2
	scratch_store_b64 off, v[2:3], off offset:12 ; 8-byte Folded Spill
	s_and_saveexec_b32 s3, vcc_lo
	s_cbranch_execz .LBB0_3
; %bb.2:
	s_clause 0x1
	scratch_load_b64 v[2:3], off, off offset:4
	scratch_load_b64 v[24:25], off, off offset:12
	v_mad_co_u64_u32 v[8:9], null, 0xffffc640, s8, v[0:1]
	s_mul_i32 s2, s9, 0xffffc640
	s_wait_alu 0xfffe
	s_sub_co_i32 s2, s2, s8
	s_wait_alu 0xfffe
	s_delay_alu instid0(VALU_DEP_1) | instskip(NEXT) | instid1(VALU_DEP_2)
	v_add_nc_u32_e32 v9, s2, v9
	v_add_co_u32 v16, s2, v8, s14
	s_wait_alu 0xf1ff
	s_delay_alu instid0(VALU_DEP_2) | instskip(SKIP_2) | instid1(VALU_DEP_1)
	v_add_co_ci_u32_e64 v17, s2, s15, v9, s2
	s_wait_loadcnt 0x1
	v_mov_b32_e32 v4, v2
	v_mad_co_u64_u32 v[2:3], null, s8, v4, 0
	s_delay_alu instid0(VALU_DEP_1) | instskip(NEXT) | instid1(VALU_DEP_1)
	v_mad_co_u64_u32 v[0:1], null, s9, v4, v[3:4]
	v_mov_b32_e32 v3, v0
	s_delay_alu instid0(VALU_DEP_1)
	v_lshlrev_b64_e32 v[18:19], 4, v[2:3]
	s_wait_loadcnt 0x0
	s_clause 0x1
	global_load_b128 v[0:3], v[24:25], off offset:7168
	global_load_b128 v[4:7], v[24:25], off offset:15008
	global_load_b128 v[8:11], v[8:9], off
	global_load_b128 v[12:15], v[16:17], off
	v_add_co_u32 v20, s2, v46, v18
	s_wait_alu 0xf1ff
	v_add_co_ci_u32_e64 v21, s2, v47, v19, s2
	v_add_co_u32 v28, s2, v16, s14
	s_wait_alu 0xf1ff
	v_add_co_ci_u32_e64 v29, s2, s15, v17, s2
	global_load_b128 v[16:19], v[24:25], off offset:22848
	global_load_b128 v[20:23], v[20:21], off
	global_load_b128 v[24:27], v[24:25], off offset:30688
	global_load_b128 v[28:31], v[28:29], off
	s_wait_loadcnt 0x5
	v_mul_f64_e32 v[32:33], v[10:11], v[6:7]
	v_mul_f64_e32 v[6:7], v[8:9], v[6:7]
	s_wait_loadcnt 0x3
	v_mul_f64_e32 v[34:35], v[14:15], v[18:19]
	s_wait_loadcnt 0x2
	v_mul_f64_e32 v[36:37], v[22:23], v[2:3]
	v_mul_f64_e32 v[38:39], v[20:21], v[2:3]
	;; [unrolled: 1-line block ×3, first 2 shown]
	s_wait_loadcnt 0x0
	v_mul_f64_e32 v[40:41], v[30:31], v[26:27]
	v_mul_f64_e32 v[26:27], v[28:29], v[26:27]
	v_fma_f64 v[2:3], v[8:9], v[4:5], v[32:33]
	v_fma_f64 v[4:5], v[10:11], v[4:5], -v[6:7]
	v_fma_f64 v[6:7], v[12:13], v[16:17], v[34:35]
	v_fma_f64 v[10:11], v[20:21], v[0:1], v[36:37]
	v_fma_f64 v[12:13], v[22:23], v[0:1], -v[38:39]
	v_fma_f64 v[8:9], v[14:15], v[16:17], -v[18:19]
	v_fma_f64 v[14:15], v[28:29], v[24:25], v[40:41]
	v_fma_f64 v[16:17], v[30:31], v[24:25], -v[26:27]
	ds_store_b128 v176, v[10:13] offset:7168
	ds_store_b128 v176, v[2:5] offset:15008
	;; [unrolled: 1-line block ×4, first 2 shown]
.LBB0_3:
	s_wait_alu 0xfffe
	s_or_b32 exec_lo, exec_lo, s3
	global_wb scope:SCOPE_SE
	s_wait_storecnt_dscnt 0x0
	s_wait_kmcnt 0x0
	s_barrier_signal -1
	s_barrier_wait -1
	global_inv scope:SCOPE_SE
	ds_load_b128 v[128:131], v176
	ds_load_b128 v[112:115], v176 offset:896
	ds_load_b128 v[132:135], v176 offset:7840
	ds_load_b128 v[116:119], v176 offset:8736
	ds_load_b128 v[136:139], v176 offset:15680
	ds_load_b128 v[120:123], v176 offset:16576
	ds_load_b128 v[140:143], v176 offset:23520
	ds_load_b128 v[124:127], v176 offset:24416
	ds_load_b128 v[96:99], v176 offset:1792
	ds_load_b128 v[0:3], v176 offset:2688
	ds_load_b128 v[100:103], v176 offset:9632
	ds_load_b128 v[12:15], v176 offset:10528
	ds_load_b128 v[104:107], v176 offset:17472
	ds_load_b128 v[56:59], v176 offset:18368
	ds_load_b128 v[108:111], v176 offset:25312
	ds_load_b128 v[60:63], v176 offset:26208
	ds_load_b128 v[16:19], v176 offset:3584
	ds_load_b128 v[20:23], v176 offset:4480
	ds_load_b128 v[28:31], v176 offset:11424
	ds_load_b128 v[24:27], v176 offset:12320
	ds_load_b128 v[72:75], v176 offset:19264
	ds_load_b128 v[64:67], v176 offset:20160
	ds_load_b128 v[76:79], v176 offset:27104
	ds_load_b128 v[68:71], v176 offset:28000
	ds_load_b128 v[32:35], v176 offset:5376
	ds_load_b128 v[36:39], v176 offset:6272
	ds_load_b128 v[44:47], v176 offset:13216
	ds_load_b128 v[40:43], v176 offset:14112
	ds_load_b128 v[88:91], v176 offset:21056
	ds_load_b128 v[80:83], v176 offset:21952
	ds_load_b128 v[92:95], v176 offset:28896
	ds_load_b128 v[84:87], v176 offset:29792
	s_load_b64 s[2:3], s[0:1], 0x8
                                        ; implicit-def: $vgpr4_vgpr5
                                        ; implicit-def: $vgpr52_vgpr53
                                        ; implicit-def: $vgpr48_vgpr49
                                        ; implicit-def: $vgpr8_vgpr9
	s_and_saveexec_b32 s0, vcc_lo
	s_cbranch_execz .LBB0_5
; %bb.4:
	ds_load_b128 v[4:7], v176 offset:7168
	ds_load_b128 v[8:11], v176 offset:15008
	;; [unrolled: 1-line block ×4, first 2 shown]
.LBB0_5:
	s_wait_alu 0xfffe
	s_or_b32 exec_lo, exec_lo, s0
	s_wait_dscnt 0x19
	v_add_f64_e64 v[140:141], v[132:133], -v[140:141]
	v_add_f64_e64 v[142:143], v[134:135], -v[142:143]
	;; [unrolled: 1-line block ×4, first 2 shown]
	global_wb scope:SCOPE_SE
	s_wait_dscnt 0x0
	s_wait_kmcnt 0x0
	s_barrier_signal -1
	s_barrier_wait -1
	global_inv scope:SCOPE_SE
	v_add_f64_e64 v[120:121], v[112:113], -v[120:121]
	v_add_f64_e64 v[122:123], v[114:115], -v[122:123]
	v_add_f64_e64 v[124:125], v[116:117], -v[124:125]
	v_add_f64_e64 v[126:127], v[118:119], -v[126:127]
	v_add_f64_e64 v[104:105], v[96:97], -v[104:105]
	v_add_f64_e64 v[106:107], v[98:99], -v[106:107]
	v_add_f64_e64 v[108:109], v[100:101], -v[108:109]
	v_add_f64_e64 v[110:111], v[102:103], -v[110:111]
	v_add_f64_e64 v[72:73], v[16:17], -v[72:73]
	v_add_f64_e64 v[74:75], v[18:19], -v[74:75]
	v_add_f64_e64 v[88:89], v[32:33], -v[88:89]
	v_add_f64_e64 v[90:91], v[34:35], -v[90:91]
	v_fma_f64 v[144:145], v[132:133], 2.0, -v[140:141]
	v_fma_f64 v[146:147], v[134:135], 2.0, -v[142:143]
	v_add_f64_e64 v[132:133], v[136:137], -v[142:143]
	v_add_f64_e32 v[134:135], v[138:139], v[140:141]
	v_fma_f64 v[140:141], v[128:129], 2.0, -v[136:137]
	v_fma_f64 v[142:143], v[130:131], 2.0, -v[138:139]
	s_delay_alu instid0(VALU_DEP_4)
	v_fma_f64 v[128:129], v[136:137], 2.0, -v[132:133]
	scratch_load_b32 v136, off, off         ; 4-byte Folded Reload
	v_fma_f64 v[130:131], v[138:139], 2.0, -v[134:135]
	s_wait_loadcnt 0x0
	v_lshlrev_b32_e32 v137, 6, v136
	ds_store_b128 v137, v[132:135] offset:48
	ds_store_b128 v137, v[128:131] offset:16
	v_add_f64_e64 v[128:129], v[140:141], -v[144:145]
	v_add_f64_e64 v[130:131], v[142:143], -v[146:147]
	s_delay_alu instid0(VALU_DEP_2) | instskip(NEXT) | instid1(VALU_DEP_2)
	v_fma_f64 v[132:133], v[140:141], 2.0, -v[128:129]
	v_fma_f64 v[134:135], v[142:143], 2.0, -v[130:131]
	ds_store_b128 v137, v[128:131] offset:32
	v_fma_f64 v[128:129], v[112:113], 2.0, -v[120:121]
	v_fma_f64 v[130:131], v[114:115], 2.0, -v[122:123]
	;; [unrolled: 1-line block ×4, first 2 shown]
	ds_store_b128 v137, v[132:135]
	v_add_f64_e64 v[112:113], v[128:129], -v[112:113]
	v_add_f64_e64 v[114:115], v[130:131], -v[114:115]
	s_delay_alu instid0(VALU_DEP_2) | instskip(NEXT) | instid1(VALU_DEP_2)
	v_fma_f64 v[116:117], v[128:129], 2.0, -v[112:113]
	v_fma_f64 v[118:119], v[130:131], 2.0, -v[114:115]
	v_add_co_u32 v128, s0, v136, 56
	s_clause 0x1
	scratch_store_b32 off, v137, off offset:568
	scratch_store_b32 off, v128, off offset:628
	v_lshlrev_b32_e32 v128, 6, v128
	ds_store_b128 v128, v[116:119]
	v_add_f64_e64 v[116:117], v[120:121], -v[126:127]
	v_add_f64_e32 v[118:119], v[122:123], v[124:125]
	s_delay_alu instid0(VALU_DEP_2) | instskip(NEXT) | instid1(VALU_DEP_2)
	v_fma_f64 v[120:121], v[120:121], 2.0, -v[116:117]
	v_fma_f64 v[122:123], v[122:123], 2.0, -v[118:119]
	ds_store_b128 v128, v[120:123] offset:16
	ds_store_b128 v128, v[112:115] offset:32
	v_fma_f64 v[112:113], v[96:97], 2.0, -v[104:105]
	v_fma_f64 v[114:115], v[98:99], 2.0, -v[106:107]
	;; [unrolled: 1-line block ×4, first 2 shown]
	ds_store_b128 v128, v[116:119] offset:48
	v_add_f64_e64 v[96:97], v[112:113], -v[96:97]
	v_add_f64_e64 v[98:99], v[114:115], -v[98:99]
	s_delay_alu instid0(VALU_DEP_2) | instskip(NEXT) | instid1(VALU_DEP_2)
	v_fma_f64 v[100:101], v[112:113], 2.0, -v[96:97]
	v_fma_f64 v[102:103], v[114:115], 2.0, -v[98:99]
	v_add_co_u32 v112, null, 0x70, v136
	scratch_store_b32 off, v128, off offset:572 ; 4-byte Folded Spill
	v_fma_f64 v[114:115], v[34:35], 2.0, -v[90:91]
	scratch_store_b32 off, v112, off offset:652 ; 4-byte Folded Spill
	v_lshlrev_b32_e32 v128, 6, v112
	v_fma_f64 v[112:113], v[32:33], 2.0, -v[88:89]
	ds_store_b128 v128, v[100:103]
	v_add_f64_e64 v[100:101], v[104:105], -v[110:111]
	v_add_f64_e32 v[102:103], v[106:107], v[108:109]
	s_delay_alu instid0(VALU_DEP_2) | instskip(NEXT) | instid1(VALU_DEP_2)
	v_fma_f64 v[104:105], v[104:105], 2.0, -v[100:101]
	v_fma_f64 v[106:107], v[106:107], 2.0, -v[102:103]
	ds_store_b128 v128, v[104:107] offset:16
	ds_store_b128 v128, v[96:99] offset:32
	v_add_f64_e64 v[96:97], v[0:1], -v[56:57]
	v_add_f64_e64 v[98:99], v[2:3], -v[58:59]
	;; [unrolled: 1-line block ×16, first 2 shown]
	v_fma_f64 v[84:85], v[16:17], 2.0, -v[72:73]
	v_fma_f64 v[86:87], v[18:19], 2.0, -v[74:75]
	ds_store_b128 v128, v[100:103] offset:48
	v_fma_f64 v[0:1], v[0:1], 2.0, -v[96:97]
	v_fma_f64 v[2:3], v[2:3], 2.0, -v[98:99]
	;; [unrolled: 1-line block ×13, first 2 shown]
	v_add_f64_e64 v[28:29], v[72:73], -v[62:63]
	v_add_f64_e64 v[36:37], v[88:89], -v[70:71]
	;; [unrolled: 1-line block ×3, first 2 shown]
	v_fma_f64 v[124:125], v[40:41], 2.0, -v[80:81]
	v_fma_f64 v[126:127], v[42:43], 2.0, -v[82:83]
	v_add_f64_e32 v[26:27], v[98:99], v[56:57]
	v_add_f64_e64 v[32:33], v[76:77], -v[66:67]
	v_add_f64_e32 v[34:35], v[78:79], v[64:65]
	v_add_f64_e32 v[30:31], v[74:75], v[60:61]
	v_fma_f64 v[122:123], v[38:39], 2.0, -v[94:95]
	v_add_f64_e32 v[38:39], v[90:91], v[68:69]
	v_add_f64_e64 v[60:61], v[92:93], -v[82:83]
	v_add_f64_e32 v[62:63], v[94:95], v[80:81]
	v_add_f64_e64 v[20:21], v[0:1], -v[12:13]
	v_add_f64_e64 v[22:23], v[2:3], -v[14:15]
	;; [unrolled: 1-line block ×12, first 2 shown]
	v_fma_f64 v[64:65], v[72:73], 2.0, -v[28:29]
	v_fma_f64 v[72:73], v[88:89], 2.0, -v[36:37]
	v_add_co_u32 v89, null, 0xa8, v136
	v_fma_f64 v[52:53], v[96:97], 2.0, -v[24:25]
	v_fma_f64 v[54:55], v[98:99], 2.0, -v[26:27]
	;; [unrolled: 1-line block ×3, first 2 shown]
	s_delay_alu instid0(VALU_DEP_4)
	v_lshlrev_b32_e32 v96, 6, v89
	v_fma_f64 v[70:71], v[78:79], 2.0, -v[34:35]
	v_fma_f64 v[66:67], v[74:75], 2.0, -v[30:31]
	;; [unrolled: 1-line block ×3, first 2 shown]
	s_wait_alu 0xf1ff
	v_add_co_ci_u32_e64 v88, null, 0, 0, s0
	v_add_co_u32 v97, s0, 0x118, v136
	ds_store_b128 v96, v[24:27] offset:48
	v_add_f64_e64 v[48:49], v[120:121], -v[124:125]
	v_add_f64_e64 v[50:51], v[122:123], -v[126:127]
	v_fma_f64 v[92:93], v[92:93], 2.0, -v[60:61]
	v_fma_f64 v[94:95], v[94:95], 2.0, -v[62:63]
	s_clause 0x1
	scratch_store_b32 off, v96, off offset:580
	scratch_store_b32 off, v97, off offset:640
	v_fma_f64 v[0:1], v[0:1], 2.0, -v[20:21]
	v_fma_f64 v[2:3], v[2:3], 2.0, -v[22:23]
	;; [unrolled: 1-line block ×4, first 2 shown]
	ds_store_b128 v96, v[20:23] offset:32
	v_fma_f64 v[80:81], v[104:105], 2.0, -v[44:45]
	v_fma_f64 v[82:83], v[106:107], 2.0, -v[46:47]
	;; [unrolled: 1-line block ×4, first 2 shown]
	ds_store_b128 v96, v[52:55] offset:16
	v_fma_f64 v[90:91], v[122:123], 2.0, -v[50:51]
	ds_store_b128 v96, v[0:3]
	v_add_f64_e64 v[0:1], v[12:13], -v[18:19]
	v_add_f64_e32 v[2:3], v[14:15], v[16:17]
	s_clause 0x1
	scratch_store_b32 off, v128, off offset:564
	scratch_store_b128 off, v[0:3], off offset:28
	v_add_co_u32 v1, null, 0xe0, v136
	scratch_store_b32 off, v89, off offset:1084 ; 4-byte Folded Spill
	s_wait_alu 0xf1ff
	v_add_co_ci_u32_e64 v0, null, 0, 0, s0
	scratch_store_b32 off, v1, off offset:1180 ; 4-byte Folded Spill
	v_add_co_u32 v3, s0, 0x150, v136
	v_lshlrev_b32_e32 v1, 6, v1
	s_wait_alu 0xf1ff
	v_add_co_ci_u32_e64 v0, null, 0, 0, s0
	v_add_co_u32 v2, s0, 0x188, v136
	s_wait_alu 0xf1ff
	v_add_co_ci_u32_e64 v0, null, 0, 0, s0
	v_lshlrev_b32_e32 v0, 6, v97
	ds_store_b128 v1, v[76:79]
	ds_store_b128 v1, v[64:67] offset:16
	ds_store_b128 v1, v[40:43] offset:32
	s_clause 0x1
	scratch_store_b32 off, v1, off offset:20
	scratch_store_b32 off, v3, off offset:636
	ds_store_b128 v1, v[28:31] offset:48
	v_lshlrev_b32_e32 v1, 6, v3
	ds_store_b128 v0, v[80:83]
	ds_store_b128 v0, v[68:71] offset:16
	ds_store_b128 v0, v[44:47] offset:32
	s_clause 0x1
	scratch_store_b32 off, v0, off offset:584
	scratch_store_b32 off, v2, off offset:632
	ds_store_b128 v0, v[32:35] offset:48
	ds_store_b128 v1, v[84:87]
	ds_store_b128 v1, v[72:75] offset:16
	ds_store_b128 v1, v[56:59] offset:32
	scratch_store_b32 off, v1, off offset:24 ; 4-byte Folded Spill
	ds_store_b128 v1, v[36:39] offset:48
	scratch_load_b64 v[0:1], off, off offset:4 ; 8-byte Folded Reload
	v_fma_f64 v[88:89], v[120:121], 2.0, -v[48:49]
	v_lshlrev_b32_e32 v2, 6, v2
	s_wait_loadcnt 0x0
	v_lshlrev_b32_e32 v0, 6, v0
	scratch_store_b32 off, v0, off offset:576 ; 4-byte Folded Spill
	ds_store_b128 v2, v[88:91]
	ds_store_b128 v2, v[92:95] offset:16
	ds_store_b128 v2, v[48:51] offset:32
	scratch_store_b32 off, v2, off offset:588 ; 4-byte Folded Spill
	ds_store_b128 v2, v[60:63] offset:48
	s_and_saveexec_b32 s0, vcc_lo
	s_cbranch_execz .LBB0_7
; %bb.6:
	s_clause 0x1
	scratch_load_b128 v[22:25], off, off offset:28
	scratch_load_b32 v0, off, off offset:576
	v_fma_f64 v[20:21], v[6:7], 2.0, -v[14:15]
	v_fma_f64 v[6:7], v[10:11], 2.0, -v[18:19]
	;; [unrolled: 1-line block ×4, first 2 shown]
	s_delay_alu instid0(VALU_DEP_3) | instskip(NEXT) | instid1(VALU_DEP_2)
	v_add_f64_e64 v[6:7], v[20:21], -v[6:7]
	v_add_f64_e64 v[4:5], v[18:19], -v[4:5]
	s_delay_alu instid0(VALU_DEP_2) | instskip(SKIP_2) | instid1(VALU_DEP_3)
	v_fma_f64 v[16:17], v[20:21], 2.0, -v[6:7]
	s_wait_loadcnt 0x1
	v_fma_f64 v[10:11], v[14:15], 2.0, -v[24:25]
	v_fma_f64 v[14:15], v[18:19], 2.0, -v[4:5]
	;; [unrolled: 1-line block ×3, first 2 shown]
	s_wait_loadcnt 0x0
	ds_store_b128 v0, v[14:17]
	ds_store_b128 v0, v[8:11] offset:16
	ds_store_b128 v0, v[4:7] offset:32
	;; [unrolled: 1-line block ×3, first 2 shown]
.LBB0_7:
	s_wait_alu 0xfffe
	s_or_b32 exec_lo, exec_lo, s0
	scratch_load_b32 v255, off, off         ; 4-byte Folded Reload
	global_wb scope:SCOPE_SE
	s_wait_storecnt 0x0
	s_wait_loadcnt_dscnt 0x0
	s_barrier_signal -1
	s_barrier_wait -1
	global_inv scope:SCOPE_SE
	s_mov_b32 s0, 0xaaaaaaaa
	s_mov_b32 s20, 0xe976ee23
	;; [unrolled: 1-line block ×20, first 2 shown]
	v_and_b32_e32 v164, 3, v255
	s_delay_alu instid0(VALU_DEP_1) | instskip(NEXT) | instid1(VALU_DEP_1)
	v_mul_u32_u24_e32 v0, 6, v164
	v_lshlrev_b32_e32 v0, 4, v0
	s_clause 0x5
	global_load_b128 v[148:151], v0, s[2:3]
	global_load_b128 v[144:147], v0, s[2:3] offset:16
	global_load_b128 v[140:143], v0, s[2:3] offset:32
	;; [unrolled: 1-line block ×5, first 2 shown]
	ds_load_b128 v[20:23], v176 offset:4480
	ds_load_b128 v[16:19], v176 offset:8960
	;; [unrolled: 1-line block ×12, first 2 shown]
	v_lshrrev_b32_e32 v0, 2, v255
	s_delay_alu instid0(VALU_DEP_1) | instskip(NEXT) | instid1(VALU_DEP_1)
	v_mul_u32_u24_e32 v0, 28, v0
	v_or_b32_e32 v0, v0, v164
	s_delay_alu instid0(VALU_DEP_1)
	v_lshlrev_b32_e32 v173, 4, v0
	s_wait_loadcnt_dscnt 0x50b
	v_mul_f64_e32 v[52:53], v[22:23], v[150:151]
	v_mul_f64_e32 v[54:55], v[20:21], v[150:151]
	s_wait_loadcnt_dscnt 0x40a
	v_mul_f64_e32 v[56:57], v[18:19], v[146:147]
	v_mul_f64_e32 v[58:59], v[16:17], v[146:147]
	;; [unrolled: 3-line block ×5, first 2 shown]
	v_mul_f64_e32 v[60:61], v[14:15], v[142:143]
	v_mul_f64_e32 v[62:63], v[12:13], v[142:143]
	s_wait_dscnt 0x5
	v_mul_f64_e32 v[76:77], v[30:31], v[150:151]
	v_mul_f64_e32 v[78:79], v[28:29], v[150:151]
	v_fma_f64 v[118:119], v[20:21], v[148:149], -v[52:53]
	v_fma_f64 v[116:117], v[22:23], v[148:149], v[54:55]
	s_wait_dscnt 0x4
	v_mul_f64_e32 v[20:21], v[34:35], v[146:147]
	v_mul_f64_e32 v[22:23], v[32:33], v[146:147]
	v_fma_f64 v[122:123], v[16:17], v[144:145], -v[56:57]
	v_fma_f64 v[120:121], v[18:19], v[144:145], v[58:59]
	s_wait_dscnt 0x3
	v_mul_f64_e32 v[16:17], v[38:39], v[142:143]
	v_mul_f64_e32 v[18:19], v[36:37], v[142:143]
	v_fma_f64 v[154:155], v[8:9], v[136:137], -v[64:65]
	v_fma_f64 v[152:153], v[10:11], v[136:137], v[66:67]
	ds_load_b128 v[8:11], v176 offset:6272
	v_fma_f64 v[158:159], v[4:5], v[132:133], -v[68:69]
	v_fma_f64 v[156:157], v[6:7], v[132:133], v[70:71]
	ds_load_b128 v[4:7], v176 offset:10752
	v_fma_f64 v[162:163], v[24:25], v[128:129], -v[72:73]
	v_fma_f64 v[160:161], v[26:27], v[128:129], v[74:75]
	s_wait_dscnt 0x2
	v_mul_f64_e32 v[24:25], v[50:51], v[134:135]
	v_mul_f64_e32 v[26:27], v[48:49], v[134:135]
	v_fma_f64 v[126:127], v[12:13], v[140:141], -v[60:61]
	v_fma_f64 v[124:125], v[14:15], v[140:141], v[62:63]
	ds_load_b128 v[12:15], v176 offset:15232
	v_fma_f64 v[94:95], v[28:29], v[148:149], -v[76:77]
	v_fma_f64 v[92:93], v[30:31], v[148:149], v[78:79]
	v_mul_f64_e32 v[30:31], v[44:45], v[130:131]
	v_mul_f64_e32 v[28:29], v[46:47], v[130:131]
	;; [unrolled: 1-line block ×4, first 2 shown]
	v_fma_f64 v[98:99], v[32:33], v[144:145], -v[20:21]
	v_fma_f64 v[96:97], v[34:35], v[144:145], v[22:23]
	s_wait_dscnt 0x1
	v_mul_f64_e32 v[32:33], v[6:7], v[146:147]
	v_mul_f64_e32 v[34:35], v[4:5], v[146:147]
	v_fma_f64 v[102:103], v[36:37], v[140:141], -v[16:17]
	v_fma_f64 v[100:101], v[38:39], v[140:141], v[18:19]
	ds_load_b128 v[16:19], v176 offset:19712
	v_mul_f64_e32 v[20:21], v[10:11], v[150:151]
	v_mul_f64_e32 v[22:23], v[8:9], v[150:151]
	v_add_f64_e32 v[181:182], v[122:123], v[158:159]
	v_add_f64_e32 v[189:190], v[120:121], v[156:157]
	v_add_f64_e64 v[122:123], v[122:123], -v[158:159]
	v_add_f64_e32 v[174:175], v[118:119], v[162:163]
	v_add_f64_e32 v[187:188], v[116:117], v[160:161]
	v_fma_f64 v[110:111], v[48:49], v[132:133], -v[24:25]
	v_fma_f64 v[108:109], v[50:51], v[132:133], v[26:27]
	s_wait_dscnt 0x1
	v_mul_f64_e32 v[24:25], v[14:15], v[142:143]
	v_mul_f64_e32 v[26:27], v[12:13], v[142:143]
	v_add_f64_e32 v[183:184], v[126:127], v[154:155]
	v_add_f64_e32 v[191:192], v[124:125], v[152:153]
	v_add_f64_e64 v[126:127], v[154:155], -v[126:127]
	v_fma_f64 v[112:113], v[46:47], v[128:129], v[30:31]
	v_fma_f64 v[114:115], v[44:45], v[128:129], -v[28:29]
	v_fma_f64 v[104:105], v[42:43], v[136:137], v[54:55]
	v_fma_f64 v[106:107], v[40:41], v[136:137], -v[52:53]
	v_add_f64_e64 v[154:155], v[118:119], -v[162:163]
	v_add_f64_e64 v[118:119], v[120:121], -v[156:157]
	;; [unrolled: 1-line block ×4, first 2 shown]
	v_fma_f64 v[74:75], v[4:5], v[144:145], -v[32:33]
	v_fma_f64 v[72:73], v[6:7], v[144:145], v[34:35]
	s_wait_dscnt 0x0
	v_mul_f64_e32 v[4:5], v[18:19], v[138:139]
	v_mul_f64_e32 v[6:7], v[16:17], v[138:139]
	v_fma_f64 v[70:71], v[8:9], v[148:149], -v[20:21]
	v_fma_f64 v[68:69], v[10:11], v[148:149], v[22:23]
	ds_load_b128 v[8:11], v176 offset:24192
	v_add_f64_e64 v[156:157], v[181:182], -v[174:175]
	v_add_f64_e64 v[160:161], v[189:190], -v[187:188]
	v_add_f64_e32 v[197:198], v[98:99], v[110:111]
	v_add_f64_e32 v[205:206], v[96:97], v[108:109]
	v_fma_f64 v[78:79], v[12:13], v[140:141], -v[24:25]
	v_fma_f64 v[76:77], v[14:15], v[140:141], v[26:27]
	v_add_f64_e64 v[158:159], v[183:184], -v[181:182]
	v_add_f64_e64 v[162:163], v[191:192], -v[189:190]
	;; [unrolled: 1-line block ×3, first 2 shown]
	v_add_f64_e32 v[203:204], v[92:93], v[112:113]
	v_add_f64_e32 v[195:196], v[94:95], v[114:115]
	;; [unrolled: 1-line block ×5, first 2 shown]
	v_add_f64_e64 v[100:101], v[104:105], -v[100:101]
	v_add_f64_e64 v[104:105], v[92:93], -v[112:113]
	v_fma_f64 v[82:83], v[16:17], v[136:137], -v[4:5]
	v_fma_f64 v[80:81], v[18:19], v[136:137], v[6:7]
	ds_load_b128 v[4:7], v176 offset:28672
	s_wait_dscnt 0x1
	v_mul_f64_e32 v[12:13], v[10:11], v[134:135]
	v_mul_f64_e32 v[14:15], v[8:9], v[134:135]
	;; [unrolled: 1-line block ×3, first 2 shown]
	v_add_f64_e64 v[112:113], v[207:208], -v[205:206]
	v_add_f64_e32 v[215:216], v[78:79], v[82:83]
	v_add_f64_e32 v[223:224], v[76:77], v[80:81]
	v_add_f64_e64 v[76:77], v[80:81], -v[76:77]
	v_fma_f64 v[86:87], v[8:9], v[132:133], -v[12:13]
	v_fma_f64 v[84:85], v[10:11], v[132:133], v[14:15]
	s_wait_dscnt 0x0
	v_mul_f64_e32 v[8:9], v[6:7], v[130:131]
	v_mul_f64_e32 v[10:11], v[4:5], v[130:131]
	s_delay_alu instid0(VALU_DEP_4) | instskip(NEXT) | instid1(VALU_DEP_4)
	v_add_f64_e32 v[213:214], v[74:75], v[86:87]
	v_add_f64_e32 v[221:222], v[72:73], v[84:85]
	s_delay_alu instid0(VALU_DEP_4) | instskip(NEXT) | instid1(VALU_DEP_4)
	v_fma_f64 v[90:91], v[4:5], v[128:129], -v[8:9]
	v_fma_f64 v[88:89], v[6:7], v[128:129], v[10:11]
	ds_load_b128 v[4:7], v176 offset:7168
	s_wait_dscnt 0x0
	v_mul_f64_e32 v[8:9], v[6:7], v[150:151]
	v_add_f64_e32 v[211:212], v[70:71], v[90:91]
	v_add_f64_e32 v[219:220], v[68:69], v[88:89]
	v_add_f64_e64 v[80:81], v[68:69], -v[88:89]
	v_add_f64_e64 v[88:89], v[223:224], -v[221:222]
	v_fma_f64 v[46:47], v[4:5], v[148:149], -v[8:9]
	v_mul_f64_e32 v[4:5], v[4:5], v[150:151]
	s_delay_alu instid0(VALU_DEP_1) | instskip(SKIP_3) | instid1(VALU_DEP_1)
	v_fma_f64 v[44:45], v[6:7], v[148:149], v[4:5]
	ds_load_b128 v[4:7], v176 offset:11648
	s_wait_dscnt 0x0
	v_mul_f64_e32 v[8:9], v[6:7], v[146:147]
	v_fma_f64 v[50:51], v[4:5], v[144:145], -v[8:9]
	v_mul_f64_e32 v[4:5], v[4:5], v[146:147]
	s_delay_alu instid0(VALU_DEP_1) | instskip(SKIP_3) | instid1(VALU_DEP_1)
	v_fma_f64 v[48:49], v[6:7], v[144:145], v[4:5]
	ds_load_b128 v[4:7], v176 offset:16128
	s_wait_dscnt 0x0
	v_mul_f64_e32 v[8:9], v[6:7], v[142:143]
	;; [unrolled: 7-line block ×3, first 2 shown]
	v_fma_f64 v[58:59], v[4:5], v[136:137], -v[8:9]
	v_mul_f64_e32 v[4:5], v[4:5], v[138:139]
	s_delay_alu instid0(VALU_DEP_2) | instskip(NEXT) | instid1(VALU_DEP_2)
	v_add_f64_e32 v[231:232], v[54:55], v[58:59]
	v_fma_f64 v[56:57], v[6:7], v[136:137], v[4:5]
	ds_load_b128 v[4:7], v176 offset:25088
	s_wait_dscnt 0x0
	v_mul_f64_e32 v[8:9], v[6:7], v[134:135]
	v_add_f64_e32 v[239:240], v[52:53], v[56:57]
	v_add_f64_e64 v[52:53], v[56:57], -v[52:53]
	s_delay_alu instid0(VALU_DEP_3) | instskip(SKIP_1) | instid1(VALU_DEP_2)
	v_fma_f64 v[62:63], v[4:5], v[132:133], -v[8:9]
	v_mul_f64_e32 v[4:5], v[4:5], v[134:135]
	v_add_f64_e32 v[229:230], v[50:51], v[62:63]
	s_delay_alu instid0(VALU_DEP_2) | instskip(SKIP_4) | instid1(VALU_DEP_2)
	v_fma_f64 v[60:61], v[6:7], v[132:133], v[4:5]
	ds_load_b128 v[4:7], v176 offset:29568
	s_wait_dscnt 0x0
	v_mul_f64_e32 v[8:9], v[6:7], v[130:131]
	v_add_f64_e32 v[237:238], v[48:49], v[60:61]
	v_fma_f64 v[66:67], v[4:5], v[128:129], -v[8:9]
	v_mul_f64_e32 v[4:5], v[4:5], v[130:131]
	ds_load_b128 v[8:11], v176 offset:8064
	v_add_f64_e32 v[227:228], v[46:47], v[66:67]
	v_fma_f64 v[64:65], v[6:7], v[128:129], v[4:5]
	s_wait_dscnt 0x0
	v_mul_f64_e32 v[4:5], v[10:11], v[150:151]
	s_delay_alu instid0(VALU_DEP_2) | instskip(NEXT) | instid1(VALU_DEP_2)
	v_add_f64_e32 v[235:236], v[44:45], v[64:65]
	v_fma_f64 v[6:7], v[8:9], v[148:149], -v[4:5]
	v_mul_f64_e32 v[4:5], v[8:9], v[150:151]
	v_add_f64_e64 v[56:57], v[44:45], -v[64:65]
	v_add_f64_e64 v[64:65], v[239:240], -v[237:238]
	s_delay_alu instid0(VALU_DEP_3) | instskip(SKIP_3) | instid1(VALU_DEP_1)
	v_fma_f64 v[4:5], v[10:11], v[148:149], v[4:5]
	ds_load_b128 v[8:11], v176 offset:12544
	s_wait_dscnt 0x0
	v_mul_f64_e32 v[12:13], v[10:11], v[146:147]
	v_fma_f64 v[26:27], v[8:9], v[144:145], -v[12:13]
	v_mul_f64_e32 v[8:9], v[8:9], v[146:147]
	s_delay_alu instid0(VALU_DEP_1) | instskip(SKIP_3) | instid1(VALU_DEP_1)
	v_fma_f64 v[24:25], v[10:11], v[144:145], v[8:9]
	ds_load_b128 v[8:11], v176 offset:17024
	s_wait_dscnt 0x0
	v_mul_f64_e32 v[12:13], v[10:11], v[142:143]
	v_fma_f64 v[30:31], v[8:9], v[140:141], -v[12:13]
	v_mul_f64_e32 v[8:9], v[8:9], v[142:143]
	s_delay_alu instid0(VALU_DEP_1) | instskip(SKIP_3) | instid1(VALU_DEP_1)
	v_fma_f64 v[28:29], v[10:11], v[140:141], v[8:9]
	ds_load_b128 v[8:11], v176 offset:21504
	s_wait_dscnt 0x0
	v_mul_f64_e32 v[12:13], v[10:11], v[138:139]
	v_fma_f64 v[34:35], v[8:9], v[136:137], -v[12:13]
	v_mul_f64_e32 v[8:9], v[8:9], v[138:139]
	s_delay_alu instid0(VALU_DEP_2) | instskip(NEXT) | instid1(VALU_DEP_2)
	v_add_f64_e32 v[247:248], v[30:31], v[34:35]
	v_fma_f64 v[32:33], v[10:11], v[136:137], v[8:9]
	ds_load_b128 v[8:11], v176 offset:25984
	s_wait_dscnt 0x0
	v_mul_f64_e32 v[12:13], v[10:11], v[134:135]
	v_add_f64_e32 v[171:172], v[28:29], v[32:33]
	v_add_f64_e64 v[32:33], v[32:33], -v[28:29]
	s_delay_alu instid0(VALU_DEP_3) | instskip(SKIP_1) | instid1(VALU_DEP_2)
	v_fma_f64 v[38:39], v[8:9], v[132:133], -v[12:13]
	v_mul_f64_e32 v[8:9], v[8:9], v[134:135]
	v_add_f64_e32 v[245:246], v[26:27], v[38:39]
	s_delay_alu instid0(VALU_DEP_2)
	v_fma_f64 v[36:37], v[10:11], v[132:133], v[8:9]
	ds_load_b128 v[8:11], v176 offset:30464
	s_wait_dscnt 0x0
	v_mul_f64_e32 v[12:13], v[10:11], v[130:131]
	v_add_f64_e32 v[253:254], v[24:25], v[36:37]
	v_add_f64_e64 v[24:25], v[24:25], -v[36:37]
	s_delay_alu instid0(VALU_DEP_3) | instskip(SKIP_1) | instid1(VALU_DEP_2)
	v_fma_f64 v[42:43], v[8:9], v[128:129], -v[12:13]
	v_mul_f64_e32 v[8:9], v[8:9], v[130:131]
	v_add_f64_e32 v[243:244], v[6:7], v[42:43]
	s_delay_alu instid0(VALU_DEP_2)
	v_fma_f64 v[40:41], v[10:11], v[128:129], v[8:9]
	v_add_f64_e32 v[8:9], v[181:182], v[174:175]
	v_add_f64_e64 v[181:182], v[118:119], -v[152:153]
	v_add_f64_e64 v[6:7], v[6:7], -v[42:43]
	v_add_f64_e64 v[42:43], v[171:172], -v[253:254]
	v_add_f64_e32 v[12:13], v[245:246], v[243:244]
	v_add_f64_e32 v[251:252], v[4:5], v[40:41]
	;; [unrolled: 1-line block ×5, first 2 shown]
	s_wait_alu 0xfffe
	v_mul_f64_e32 v[116:117], s[8:9], v[158:159]
	v_add_f64_e64 v[4:5], v[4:5], -v[40:41]
	v_add_f64_e64 v[40:41], v[247:248], -v[245:246]
	v_add_f64_e32 v[249:250], v[247:248], v[12:13]
	v_add_f64_e32 v[12:13], v[253:254], v[251:252]
	v_add_f64_e64 v[36:37], v[253:254], -v[251:252]
	v_add_f64_e32 v[193:194], v[191:192], v[8:9]
	ds_load_b128 v[8:11], v176
	v_fma_f64 v[116:117], v[156:157], s[18:19], -v[116:117]
	v_add_f64_e32 v[169:170], v[171:172], v[12:13]
	ds_load_b128 v[12:15], v176 offset:3584
	s_wait_dscnt 0x1
	v_add_f64_e32 v[165:166], v[8:9], v[185:186]
	v_add_f64_e32 v[8:9], v[197:198], v[195:196]
	;; [unrolled: 1-line block ×3, first 2 shown]
	v_add_f64_e64 v[171:172], v[251:252], -v[171:172]
	s_wait_dscnt 0x0
	v_add_f64_e32 v[12:13], v[12:13], v[249:250]
	v_add_f64_e32 v[14:15], v[14:15], v[169:170]
	v_fma_f64 v[185:186], v[185:186], s[0:1], v[165:166]
	v_add_f64_e32 v[201:202], v[199:200], v[8:9]
	v_add_f64_e32 v[8:9], v[205:206], v[203:204]
	v_fma_f64 v[193:194], v[193:194], s[0:1], v[167:168]
	v_mul_f64_e32 v[171:172], s[24:25], v[171:172]
	v_fma_f64 v[169:170], v[169:170], s[0:1], v[14:15]
	v_add_f64_e32 v[0:1], v[116:117], v[185:186]
	v_add_f64_e32 v[209:210], v[207:208], v[8:9]
	ds_load_b128 v[8:11], v176 offset:896
	s_wait_dscnt 0x0
	v_add_f64_e32 v[16:17], v[8:9], v[201:202]
	v_add_f64_e32 v[8:9], v[213:214], v[211:212]
	;; [unrolled: 1-line block ×3, first 2 shown]
	s_delay_alu instid0(VALU_DEP_2) | instskip(SKIP_1) | instid1(VALU_DEP_1)
	v_add_f64_e32 v[217:218], v[215:216], v[8:9]
	v_add_f64_e32 v[8:9], v[221:222], v[219:220]
	;; [unrolled: 1-line block ×3, first 2 shown]
	ds_load_b128 v[8:11], v176 offset:1792
	s_wait_dscnt 0x0
	v_add_f64_e32 v[20:21], v[8:9], v[217:218]
	v_add_f64_e32 v[8:9], v[229:230], v[227:228]
	;; [unrolled: 1-line block ×3, first 2 shown]
	s_delay_alu instid0(VALU_DEP_2) | instskip(SKIP_1) | instid1(VALU_DEP_1)
	v_add_f64_e32 v[233:234], v[231:232], v[8:9]
	v_add_f64_e32 v[8:9], v[237:238], v[235:236]
	v_add_f64_e32 v[241:242], v[239:240], v[8:9]
	ds_load_b128 v[8:11], v176 offset:2688
	global_wb scope:SCOPE_SE
	s_wait_dscnt 0x0
	s_barrier_signal -1
	s_barrier_wait -1
	global_inv scope:SCOPE_SE
	ds_store_b128 v173, v[165:168]
	v_add_f64_e64 v[165:166], v[122:123], -v[154:155]
	v_add_f64_e64 v[167:168], v[124:125], -v[118:119]
	v_add_f64_e32 v[122:123], v[124:125], v[118:119]
	v_mul_f64_e32 v[118:119], s[8:9], v[162:163]
	v_add_f64_e32 v[8:9], v[8:9], v[233:234]
	v_add_f64_e32 v[10:11], v[10:11], v[241:242]
	v_fma_f64 v[120:121], v[165:166], s[16:17], -v[177:178]
	v_mul_f64_e32 v[167:168], s[20:21], v[167:168]
	v_add_f64_e32 v[179:180], v[122:123], v[152:153]
	v_fma_f64 v[118:119], v[160:161], s[18:19], -v[118:119]
	s_delay_alu instid0(VALU_DEP_4) | instskip(NEXT) | instid1(VALU_DEP_4)
	v_fma_f64 v[122:123], v[189:190], s[14:15], v[120:121]
	v_fma_f64 v[120:121], v[181:182], s[16:17], -v[167:168]
	s_delay_alu instid0(VALU_DEP_3) | instskip(NEXT) | instid1(VALU_DEP_2)
	v_add_f64_e32 v[2:3], v[118:119], v[193:194]
	v_fma_f64 v[120:121], v[179:180], s[14:15], v[120:121]
	s_delay_alu instid0(VALU_DEP_2)
	v_add_f64_e32 v[118:119], v[122:123], v[2:3]
	v_add_f64_e64 v[122:123], v[2:3], -v[122:123]
	v_add_f64_e64 v[2:3], v[187:188], -v[191:192]
	;; [unrolled: 1-line block ×4, first 2 shown]
	v_add_f64_e32 v[120:121], v[120:121], v[0:1]
	v_add_f64_e64 v[0:1], v[174:175], -v[183:184]
	v_add_f64_e64 v[174:175], v[154:155], -v[126:127]
	;; [unrolled: 1-line block ×3, first 2 shown]
	v_mul_f64_e32 v[124:125], s[16:17], v[165:166]
	v_mul_f64_e32 v[126:127], s[16:17], v[181:182]
	;; [unrolled: 1-line block ×3, first 2 shown]
	v_fma_f64 v[181:182], v[209:210], s[0:1], v[18:19]
	v_mul_f64_e32 v[0:1], s[24:25], v[0:1]
	v_fma_f64 v[124:125], v[174:175], s[28:29], -v[124:125]
	v_fma_f64 v[126:127], v[183:184], s[28:29], -v[126:127]
	;; [unrolled: 1-line block ×3, first 2 shown]
	v_fma_f64 v[2:3], v[162:163], s[8:9], v[2:3]
	v_fma_f64 v[152:153], v[156:157], s[26:27], -v[0:1]
	v_fma_f64 v[0:1], v[158:159], s[8:9], v[0:1]
	v_fma_f64 v[156:157], v[189:190], s[14:15], v[124:125]
	;; [unrolled: 1-line block ×3, first 2 shown]
	v_add_f64_e32 v[154:155], v[154:155], v[193:194]
	v_add_f64_e32 v[2:3], v[2:3], v[193:194]
	;; [unrolled: 1-line block ×4, first 2 shown]
	s_delay_alu instid0(VALU_DEP_4)
	v_add_f64_e64 v[126:127], v[154:155], -v[156:157]
	v_add_f64_e32 v[154:155], v[156:157], v[154:155]
	v_fma_f64 v[156:157], v[174:175], s[22:23], v[177:178]
	v_add_f64_e32 v[124:125], v[160:161], v[152:153]
	v_add_f64_e64 v[152:153], v[152:153], -v[160:161]
	v_fma_f64 v[160:161], v[183:184], s[22:23], v[167:168]
	s_delay_alu instid0(VALU_DEP_4) | instskip(NEXT) | instid1(VALU_DEP_2)
	v_fma_f64 v[162:163], v[189:190], s[14:15], v[156:157]
	v_fma_f64 v[160:161], v[179:180], s[14:15], v[160:161]
	v_fma_f64 v[179:180], v[201:202], s[0:1], v[16:17]
	s_delay_alu instid0(VALU_DEP_3)
	v_add_f64_e64 v[158:159], v[2:3], -v[162:163]
	v_add_f64_e32 v[162:163], v[162:163], v[2:3]
	v_add_f64_e64 v[2:3], v[106:107], -v[102:103]
	v_add_f64_e64 v[102:103], v[94:95], -v[114:115]
	;; [unrolled: 1-line block ×5, first 2 shown]
	v_add_f64_e32 v[156:157], v[160:161], v[0:1]
	v_add_f64_e64 v[160:161], v[0:1], -v[160:161]
	v_add_f64_e64 v[0:1], v[98:99], -v[110:111]
	;; [unrolled: 1-line block ×3, first 2 shown]
	ds_store_b128 v173, v[156:159] offset:64
	ds_store_b128 v173, v[124:127] offset:128
	;; [unrolled: 1-line block ×5, first 2 shown]
	v_add_f64_e64 v[114:115], v[100:101], -v[94:95]
	v_add_f64_e64 v[96:97], v[2:3], -v[0:1]
	v_add_f64_e32 v[92:93], v[2:3], v[0:1]
	v_add_f64_e64 v[0:1], v[0:1], -v[102:103]
	v_add_f64_e32 v[98:99], v[100:101], v[94:95]
	v_add_f64_e64 v[165:166], v[94:95], -v[104:105]
	v_mul_f64_e32 v[94:95], s[8:9], v[112:113]
	v_add_f64_e64 v[2:3], v[102:103], -v[2:3]
	scratch_store_b32 off, v173, off offset:592 ; 4-byte Folded Spill
	ds_store_b128 v173, v[160:163] offset:384
	scratch_load_b32 v173, off, off offset:628 ; 4-byte Folded Reload
	v_mul_f64_e32 v[114:115], s[20:21], v[114:115]
	v_mul_f64_e32 v[177:178], s[20:21], v[96:97]
	v_add_f64_e32 v[167:168], v[92:93], v[102:103]
	v_mul_f64_e32 v[92:93], s[8:9], v[108:109]
	v_add_f64_e32 v[174:175], v[98:99], v[104:105]
	v_mul_f64_e32 v[100:101], s[16:17], v[165:166]
	v_fma_f64 v[94:95], v[110:111], s[18:19], -v[94:95]
	v_fma_f64 v[96:97], v[0:1], s[16:17], -v[177:178]
	v_mul_f64_e32 v[0:1], s[16:17], v[0:1]
	v_fma_f64 v[92:93], v[106:107], s[18:19], -v[92:93]
	v_fma_f64 v[100:101], v[187:188], s[28:29], -v[100:101]
	v_add_f64_e32 v[185:186], v[94:95], v[181:182]
	v_fma_f64 v[98:99], v[167:168], s[14:15], v[96:97]
	v_fma_f64 v[96:97], v[165:166], s[16:17], -v[114:115]
	v_add_f64_e32 v[183:184], v[92:93], v[179:180]
	v_fma_f64 v[0:1], v[2:3], s[28:29], -v[0:1]
	s_delay_alu instid0(VALU_DEP_4) | instskip(NEXT) | instid1(VALU_DEP_4)
	v_add_f64_e32 v[94:95], v[98:99], v[185:186]
	v_fma_f64 v[96:97], v[174:175], s[14:15], v[96:97]
	v_add_f64_e64 v[98:99], v[185:186], -v[98:99]
	v_add_f64_e64 v[185:186], v[203:204], -v[207:208]
	v_fma_f64 v[0:1], v[167:168], s[14:15], v[0:1]
	s_delay_alu instid0(VALU_DEP_4) | instskip(SKIP_2) | instid1(VALU_DEP_1)
	v_add_f64_e64 v[92:93], v[183:184], -v[96:97]
	v_add_f64_e32 v[96:97], v[96:97], v[183:184]
	v_add_f64_e64 v[183:184], v[195:196], -v[199:200]
	v_mul_f64_e32 v[165:166], s[24:25], v[183:184]
	v_mul_f64_e32 v[183:184], s[24:25], v[185:186]
	s_delay_alu instid0(VALU_DEP_2) | instskip(NEXT) | instid1(VALU_DEP_2)
	v_fma_f64 v[102:103], v[106:107], s[26:27], -v[165:166]
	v_fma_f64 v[104:105], v[110:111], s[26:27], -v[183:184]
	v_fma_f64 v[106:107], v[174:175], s[14:15], v[100:101]
	v_fma_f64 v[108:109], v[108:109], s[8:9], v[165:166]
	s_delay_alu instid0(VALU_DEP_4) | instskip(NEXT) | instid1(VALU_DEP_4)
	v_add_f64_e32 v[110:111], v[102:103], v[179:180]
	v_add_f64_e32 v[185:186], v[104:105], v[181:182]
	s_delay_alu instid0(VALU_DEP_2) | instskip(NEXT) | instid1(VALU_DEP_2)
	v_add_f64_e32 v[100:101], v[106:107], v[110:111]
	v_add_f64_e64 v[102:103], v[185:186], -v[0:1]
	v_add_f64_e64 v[104:105], v[110:111], -v[106:107]
	v_add_f64_e32 v[106:107], v[0:1], v[185:186]
	v_fma_f64 v[0:1], v[2:3], s[22:23], v[177:178]
	v_fma_f64 v[2:3], v[187:188], s[22:23], v[114:115]
	;; [unrolled: 1-line block ×3, first 2 shown]
	v_add_f64_e32 v[112:113], v[108:109], v[179:180]
	v_fma_f64 v[179:180], v[217:218], s[0:1], v[20:21]
	v_add_f64_e64 v[187:188], v[80:81], -v[76:77]
	v_fma_f64 v[0:1], v[167:168], s[14:15], v[0:1]
	v_fma_f64 v[2:3], v[174:175], s[14:15], v[2:3]
	v_add_f64_e32 v[114:115], v[110:111], v[181:182]
	v_fma_f64 v[181:182], v[225:226], s[0:1], v[22:23]
	s_delay_alu instid0(VALU_DEP_3) | instskip(NEXT) | instid1(VALU_DEP_3)
	v_add_f64_e32 v[108:109], v[2:3], v[112:113]
	v_add_f64_e64 v[110:111], v[114:115], -v[0:1]
	v_add_f64_e64 v[112:113], v[112:113], -v[2:3]
	v_add_f64_e32 v[114:115], v[0:1], v[114:115]
	v_add_f64_e64 v[0:1], v[74:75], -v[86:87]
	v_add_f64_e64 v[2:3], v[82:83], -v[78:79]
	;; [unrolled: 1-line block ×8, first 2 shown]
	v_add_f64_e32 v[68:69], v[2:3], v[0:1]
	v_add_f64_e64 v[0:1], v[0:1], -v[78:79]
	v_add_f64_e64 v[90:91], v[76:77], -v[70:71]
	v_add_f64_e32 v[74:75], v[76:77], v[70:71]
	v_add_f64_e64 v[165:166], v[70:71], -v[80:81]
	v_mul_f64_e32 v[70:71], s[8:9], v[88:89]
	v_add_f64_e64 v[2:3], v[78:79], -v[2:3]
	v_mul_f64_e32 v[177:178], s[20:21], v[72:73]
	v_add_f64_e32 v[167:168], v[68:69], v[78:79]
	v_mul_f64_e32 v[68:69], s[8:9], v[84:85]
	v_mul_f64_e32 v[90:91], s[20:21], v[90:91]
	v_add_f64_e32 v[174:175], v[74:75], v[80:81]
	v_mul_f64_e32 v[76:77], s[16:17], v[165:166]
	v_fma_f64 v[70:71], v[86:87], s[18:19], -v[70:71]
	v_fma_f64 v[72:73], v[0:1], s[16:17], -v[177:178]
	v_mul_f64_e32 v[0:1], s[16:17], v[0:1]
	v_fma_f64 v[68:69], v[82:83], s[18:19], -v[68:69]
	v_fma_f64 v[76:77], v[187:188], s[28:29], -v[76:77]
	v_add_f64_e32 v[185:186], v[70:71], v[181:182]
	v_fma_f64 v[74:75], v[167:168], s[14:15], v[72:73]
	v_fma_f64 v[72:73], v[165:166], s[16:17], -v[90:91]
	v_add_f64_e32 v[183:184], v[68:69], v[179:180]
	v_fma_f64 v[0:1], v[2:3], s[28:29], -v[0:1]
	s_delay_alu instid0(VALU_DEP_4) | instskip(NEXT) | instid1(VALU_DEP_4)
	v_add_f64_e32 v[70:71], v[74:75], v[185:186]
	v_fma_f64 v[72:73], v[174:175], s[14:15], v[72:73]
	v_add_f64_e64 v[74:75], v[185:186], -v[74:75]
	v_add_f64_e64 v[185:186], v[219:220], -v[223:224]
	v_fma_f64 v[0:1], v[167:168], s[14:15], v[0:1]
	s_delay_alu instid0(VALU_DEP_4) | instskip(SKIP_2) | instid1(VALU_DEP_1)
	v_add_f64_e64 v[68:69], v[183:184], -v[72:73]
	v_add_f64_e32 v[72:73], v[72:73], v[183:184]
	v_add_f64_e64 v[183:184], v[211:212], -v[215:216]
	v_mul_f64_e32 v[165:166], s[24:25], v[183:184]
	v_mul_f64_e32 v[183:184], s[24:25], v[185:186]
	s_delay_alu instid0(VALU_DEP_2) | instskip(NEXT) | instid1(VALU_DEP_2)
	v_fma_f64 v[78:79], v[82:83], s[26:27], -v[165:166]
	v_fma_f64 v[80:81], v[86:87], s[26:27], -v[183:184]
	v_fma_f64 v[82:83], v[174:175], s[14:15], v[76:77]
	v_fma_f64 v[84:85], v[84:85], s[8:9], v[165:166]
	s_delay_alu instid0(VALU_DEP_4) | instskip(NEXT) | instid1(VALU_DEP_4)
	v_add_f64_e32 v[86:87], v[78:79], v[179:180]
	v_add_f64_e32 v[185:186], v[80:81], v[181:182]
	s_delay_alu instid0(VALU_DEP_2) | instskip(NEXT) | instid1(VALU_DEP_2)
	v_add_f64_e32 v[76:77], v[82:83], v[86:87]
	v_add_f64_e64 v[78:79], v[185:186], -v[0:1]
	v_add_f64_e64 v[80:81], v[86:87], -v[82:83]
	v_add_f64_e32 v[82:83], v[0:1], v[185:186]
	v_fma_f64 v[0:1], v[2:3], s[22:23], v[177:178]
	v_fma_f64 v[2:3], v[187:188], s[22:23], v[90:91]
	;; [unrolled: 1-line block ×3, first 2 shown]
	v_add_f64_e32 v[88:89], v[84:85], v[179:180]
	v_fma_f64 v[179:180], v[233:234], s[0:1], v[8:9]
	v_add_f64_e64 v[187:188], v[56:57], -v[52:53]
	v_fma_f64 v[0:1], v[167:168], s[14:15], v[0:1]
	v_fma_f64 v[2:3], v[174:175], s[14:15], v[2:3]
	v_add_f64_e32 v[90:91], v[86:87], v[181:182]
	v_fma_f64 v[181:182], v[241:242], s[0:1], v[10:11]
	s_delay_alu instid0(VALU_DEP_3) | instskip(NEXT) | instid1(VALU_DEP_3)
	v_add_f64_e32 v[84:85], v[2:3], v[88:89]
	v_add_f64_e64 v[86:87], v[90:91], -v[0:1]
	v_add_f64_e64 v[88:89], v[88:89], -v[2:3]
	v_add_f64_e32 v[90:91], v[0:1], v[90:91]
	v_add_f64_e64 v[0:1], v[50:51], -v[62:63]
	v_add_f64_e64 v[2:3], v[58:59], -v[54:55]
	;; [unrolled: 1-line block ×8, first 2 shown]
	v_add_f64_e32 v[44:45], v[2:3], v[0:1]
	v_add_f64_e64 v[0:1], v[0:1], -v[54:55]
	v_add_f64_e64 v[66:67], v[52:53], -v[46:47]
	v_add_f64_e32 v[50:51], v[52:53], v[46:47]
	v_add_f64_e64 v[165:166], v[46:47], -v[56:57]
	v_mul_f64_e32 v[46:47], s[8:9], v[64:65]
	v_add_f64_e64 v[2:3], v[54:55], -v[2:3]
	v_mul_f64_e32 v[177:178], s[20:21], v[48:49]
	v_add_f64_e32 v[167:168], v[44:45], v[54:55]
	v_mul_f64_e32 v[44:45], s[8:9], v[60:61]
	v_mul_f64_e32 v[66:67], s[20:21], v[66:67]
	v_add_f64_e32 v[174:175], v[50:51], v[56:57]
	v_mul_f64_e32 v[52:53], s[16:17], v[165:166]
	v_fma_f64 v[46:47], v[62:63], s[18:19], -v[46:47]
	v_fma_f64 v[48:49], v[0:1], s[16:17], -v[177:178]
	v_mul_f64_e32 v[0:1], s[16:17], v[0:1]
	v_fma_f64 v[44:45], v[58:59], s[18:19], -v[44:45]
	v_fma_f64 v[52:53], v[187:188], s[28:29], -v[52:53]
	v_add_f64_e32 v[185:186], v[46:47], v[181:182]
	v_fma_f64 v[50:51], v[167:168], s[14:15], v[48:49]
	v_fma_f64 v[48:49], v[165:166], s[16:17], -v[66:67]
	v_add_f64_e32 v[183:184], v[44:45], v[179:180]
	v_fma_f64 v[0:1], v[2:3], s[28:29], -v[0:1]
	s_delay_alu instid0(VALU_DEP_4) | instskip(NEXT) | instid1(VALU_DEP_4)
	v_add_f64_e32 v[46:47], v[50:51], v[185:186]
	v_fma_f64 v[48:49], v[174:175], s[14:15], v[48:49]
	v_add_f64_e64 v[50:51], v[185:186], -v[50:51]
	v_add_f64_e64 v[185:186], v[235:236], -v[239:240]
	v_fma_f64 v[0:1], v[167:168], s[14:15], v[0:1]
	s_delay_alu instid0(VALU_DEP_4) | instskip(SKIP_2) | instid1(VALU_DEP_1)
	v_add_f64_e64 v[44:45], v[183:184], -v[48:49]
	v_add_f64_e32 v[48:49], v[48:49], v[183:184]
	v_add_f64_e64 v[183:184], v[227:228], -v[231:232]
	v_mul_f64_e32 v[165:166], s[24:25], v[183:184]
	v_mul_f64_e32 v[183:184], s[24:25], v[185:186]
	s_delay_alu instid0(VALU_DEP_2) | instskip(NEXT) | instid1(VALU_DEP_2)
	v_fma_f64 v[54:55], v[58:59], s[26:27], -v[165:166]
	v_fma_f64 v[56:57], v[62:63], s[26:27], -v[183:184]
	v_fma_f64 v[58:59], v[174:175], s[14:15], v[52:53]
	v_fma_f64 v[60:61], v[60:61], s[8:9], v[165:166]
	v_add_f64_e64 v[165:166], v[24:25], -v[4:5]
	v_add_f64_e32 v[62:63], v[54:55], v[179:180]
	v_add_f64_e32 v[185:186], v[56:57], v[181:182]
	s_delay_alu instid0(VALU_DEP_2) | instskip(NEXT) | instid1(VALU_DEP_2)
	v_add_f64_e32 v[52:53], v[58:59], v[62:63]
	v_add_f64_e64 v[54:55], v[185:186], -v[0:1]
	v_add_f64_e64 v[56:57], v[62:63], -v[58:59]
	v_add_f64_e32 v[58:59], v[0:1], v[185:186]
	v_fma_f64 v[0:1], v[2:3], s[22:23], v[177:178]
	v_fma_f64 v[2:3], v[187:188], s[22:23], v[66:67]
	;; [unrolled: 1-line block ×3, first 2 shown]
	v_add_f64_e32 v[64:65], v[60:61], v[179:180]
	s_delay_alu instid0(VALU_DEP_4) | instskip(NEXT) | instid1(VALU_DEP_4)
	v_fma_f64 v[0:1], v[167:168], s[14:15], v[0:1]
	v_fma_f64 v[2:3], v[174:175], s[14:15], v[2:3]
	s_delay_alu instid0(VALU_DEP_4) | instskip(SKIP_2) | instid1(VALU_DEP_4)
	v_add_f64_e32 v[66:67], v[62:63], v[181:182]
	v_fma_f64 v[181:182], v[249:250], s[0:1], v[12:13]
	v_cmp_gt_u16_e64 s0, 28, v255
	v_add_f64_e32 v[60:61], v[2:3], v[64:65]
	s_delay_alu instid0(VALU_DEP_4)
	v_add_f64_e64 v[62:63], v[66:67], -v[0:1]
	v_add_f64_e64 v[64:65], v[64:65], -v[2:3]
	v_add_f64_e32 v[66:67], v[0:1], v[66:67]
	v_add_f64_e64 v[0:1], v[26:27], -v[38:39]
	v_add_f64_e64 v[2:3], v[34:35], -v[30:31]
	;; [unrolled: 1-line block ×4, first 2 shown]
	v_add_f64_e32 v[30:31], v[32:33], v[24:25]
	v_mul_f64_e32 v[24:25], s[8:9], v[40:41]
	v_add_f64_e64 v[28:29], v[2:3], -v[0:1]
	v_add_f64_e32 v[26:27], v[2:3], v[0:1]
	v_add_f64_e64 v[0:1], v[0:1], -v[6:7]
	v_mul_f64_e32 v[179:180], s[20:21], v[38:39]
	v_add_f64_e32 v[174:175], v[30:31], v[4:5]
	v_fma_f64 v[24:25], v[34:35], s[18:19], -v[24:25]
	v_add_f64_e64 v[2:3], v[6:7], -v[2:3]
	v_add_f64_e64 v[4:5], v[4:5], -v[32:33]
	v_mul_f64_e32 v[177:178], s[20:21], v[28:29]
	v_add_f64_e32 v[167:168], v[26:27], v[6:7]
	v_mul_f64_e32 v[6:7], s[16:17], v[165:166]
	v_mul_f64_e32 v[26:27], s[8:9], v[42:43]
	v_add_f64_e32 v[38:39], v[24:25], v[181:182]
	v_fma_f64 v[28:29], v[0:1], s[16:17], -v[177:178]
	v_mul_f64_e32 v[0:1], s[16:17], v[0:1]
	v_fma_f64 v[6:7], v[4:5], s[28:29], -v[6:7]
	v_fma_f64 v[26:27], v[36:37], s[18:19], -v[26:27]
	s_delay_alu instid0(VALU_DEP_4) | instskip(SKIP_4) | instid1(VALU_DEP_4)
	v_fma_f64 v[30:31], v[167:168], s[14:15], v[28:29]
	v_fma_f64 v[28:29], v[165:166], s[16:17], -v[179:180]
	v_fma_f64 v[0:1], v[2:3], s[28:29], -v[0:1]
	v_fma_f64 v[6:7], v[174:175], s[14:15], v[6:7]
	v_add_f64_e32 v[183:184], v[26:27], v[169:170]
	v_fma_f64 v[28:29], v[174:175], s[14:15], v[28:29]
	s_delay_alu instid0(VALU_DEP_4) | instskip(NEXT) | instid1(VALU_DEP_3)
	v_fma_f64 v[0:1], v[167:168], s[14:15], v[0:1]
	v_add_f64_e32 v[26:27], v[30:31], v[183:184]
	v_add_f64_e64 v[30:31], v[183:184], -v[30:31]
	s_delay_alu instid0(VALU_DEP_4) | instskip(SKIP_2) | instid1(VALU_DEP_1)
	v_add_f64_e64 v[24:25], v[38:39], -v[28:29]
	v_add_f64_e32 v[28:29], v[28:29], v[38:39]
	v_add_f64_e64 v[38:39], v[243:244], -v[247:248]
	v_mul_f64_e32 v[165:166], s[24:25], v[38:39]
	s_delay_alu instid0(VALU_DEP_1) | instskip(SKIP_1) | instid1(VALU_DEP_2)
	v_fma_f64 v[32:33], v[34:35], s[26:27], -v[165:166]
	v_fma_f64 v[34:35], v[36:37], s[26:27], -v[171:172]
	v_add_f64_e32 v[36:37], v[32:33], v[181:182]
	s_delay_alu instid0(VALU_DEP_2) | instskip(NEXT) | instid1(VALU_DEP_2)
	v_add_f64_e32 v[38:39], v[34:35], v[169:170]
	v_add_f64_e32 v[32:33], v[6:7], v[36:37]
	s_delay_alu instid0(VALU_DEP_2)
	v_add_f64_e64 v[34:35], v[38:39], -v[0:1]
	v_add_f64_e64 v[36:37], v[36:37], -v[6:7]
	v_add_f64_e32 v[38:39], v[0:1], v[38:39]
	v_fma_f64 v[0:1], v[2:3], s[22:23], v[177:178]
	v_fma_f64 v[6:7], v[42:43], s[8:9], v[171:172]
	;; [unrolled: 1-line block ×4, first 2 shown]
	s_delay_alu instid0(VALU_DEP_4) | instskip(NEXT) | instid1(VALU_DEP_4)
	v_fma_f64 v[0:1], v[167:168], s[14:15], v[0:1]
	v_add_f64_e32 v[6:7], v[6:7], v[169:170]
	s_delay_alu instid0(VALU_DEP_4) | instskip(NEXT) | instid1(VALU_DEP_4)
	v_fma_f64 v[2:3], v[174:175], s[14:15], v[2:3]
	v_add_f64_e32 v[4:5], v[4:5], v[181:182]
	s_delay_alu instid0(VALU_DEP_3) | instskip(SKIP_3) | instid1(VALU_DEP_4)
	v_add_f64_e64 v[42:43], v[6:7], -v[0:1]
	v_add_f64_e32 v[6:7], v[0:1], v[6:7]
	s_wait_loadcnt 0x0
	v_lshrrev_b32_e32 v0, 2, v173
	v_add_f64_e32 v[40:41], v[2:3], v[4:5]
	v_add_f64_e64 v[4:5], v[4:5], -v[2:3]
	v_lshlrev_b32_e32 v3, 2, v255
	s_delay_alu instid0(VALU_DEP_4) | instskip(NEXT) | instid1(VALU_DEP_1)
	v_mul_u32_u24_e32 v0, 28, v0
	v_or_b32_e32 v0, v0, v164
	s_delay_alu instid0(VALU_DEP_1)
	v_lshlrev_b32_e32 v0, 4, v0
	ds_store_b128 v0, v[16:19]
	ds_store_b128 v0, v[108:111] offset:64
	ds_store_b128 v0, v[100:103] offset:128
	;; [unrolled: 1-line block ×5, first 2 shown]
	scratch_load_b32 v235, off, off offset:652 ; 4-byte Folded Reload
	scratch_store_b32 off, v0, off offset:600 ; 4-byte Folded Spill
	ds_store_b128 v0, v[112:115] offset:384
	s_wait_loadcnt 0x0
	v_lshrrev_b32_e32 v0, 2, v235
	s_delay_alu instid0(VALU_DEP_1) | instskip(NEXT) | instid1(VALU_DEP_1)
	v_mul_u32_u24_e32 v0, 28, v0
	v_or_b32_e32 v0, v0, v164
	s_delay_alu instid0(VALU_DEP_1)
	v_lshlrev_b32_e32 v2, 4, v0
	ds_store_b128 v2, v[20:23]
	ds_store_b128 v2, v[84:87] offset:64
	ds_store_b128 v2, v[76:79] offset:128
	s_clause 0x2
	scratch_load_b32 v234, off, off offset:1084
	scratch_load_b32 v233, off, off offset:1180
	;; [unrolled: 1-line block ×3, first 2 shown]
	scratch_store_b32 off, v3, off offset:1276 ; 4-byte Folded Spill
	v_lshlrev_b32_e32 v3, 2, v173
	ds_store_b128 v2, v[68:71] offset:192
	scratch_store_b32 off, v3, off offset:1324 ; 4-byte Folded Spill
	v_lshlrev_b32_e32 v3, 2, v235
	scratch_store_b32 off, v3, off offset:1388 ; 4-byte Folded Spill
	s_wait_loadcnt 0x2
	v_lshrrev_b32_e32 v0, 2, v234
	s_wait_loadcnt 0x1
	v_lshrrev_b32_e32 v1, 2, v233
	v_lshlrev_b32_e32 v3, 2, v234
	s_delay_alu instid0(VALU_DEP_3) | instskip(NEXT) | instid1(VALU_DEP_3)
	v_mul_u32_u24_e32 v0, 28, v0
	v_mul_u32_u24_e32 v1, 28, v1
	scratch_store_b32 off, v3, off offset:1452 ; 4-byte Folded Spill
	s_wait_loadcnt 0x0
	v_lshlrev_b32_e32 v3, 2, v174
	v_or_b32_e32 v0, v0, v164
	v_or_b32_e32 v1, v1, v164
	scratch_store_b32 off, v3, off offset:1580 ; 4-byte Folded Spill
	ds_store_b128 v2, v[72:75] offset:256
	ds_store_b128 v2, v[80:83] offset:320
	v_lshlrev_b32_e32 v3, 4, v0
	v_lshlrev_b32_e32 v0, 4, v1
	scratch_store_b32 off, v2, off offset:596 ; 4-byte Folded Spill
	ds_store_b128 v2, v[88:91] offset:384
	ds_store_b128 v3, v[8:11]
	ds_store_b128 v3, v[60:63] offset:64
	ds_store_b128 v3, v[52:55] offset:128
	;; [unrolled: 1-line block ×5, first 2 shown]
	scratch_store_b32 off, v3, off offset:608 ; 4-byte Folded Spill
	ds_store_b128 v3, v[64:67] offset:384
	ds_store_b128 v0, v[12:15]
	ds_store_b128 v0, v[40:43] offset:64
	ds_store_b128 v0, v[32:35] offset:128
	;; [unrolled: 1-line block ×5, first 2 shown]
	scratch_store_b32 off, v0, off offset:604 ; 4-byte Folded Spill
	ds_store_b128 v0, v[4:7] offset:384
	global_wb scope:SCOPE_SE
	s_wait_storecnt_dscnt 0x0
	s_barrier_signal -1
	s_barrier_wait -1
	global_inv scope:SCOPE_SE
	ds_load_b128 v[72:75], v176
	ds_load_b128 v[68:71], v176 offset:896
	ds_load_b128 v[160:163], v176 offset:16576
	;; [unrolled: 1-line block ×33, first 2 shown]
	s_and_saveexec_b32 s1, s0
	s_cbranch_execz .LBB0_9
; %bb.8:
	ds_load_b128 v[4:7], v176 offset:15232
	ds_load_b128 v[0:3], v176 offset:30912
	s_wait_dscnt 0x0
	scratch_store_b128 off, v[0:3], off offset:28 ; 16-byte Folded Spill
.LBB0_9:
	s_wait_alu 0xfffe
	s_or_b32 exec_lo, exec_lo, s1
	scratch_load_b32 v232, off, off         ; 4-byte Folded Reload
	s_wait_loadcnt 0x0
	v_add_co_u32 v0, s1, 0xffffffe4, v232
	s_wait_alu 0xf1ff
	v_add_co_ci_u32_e64 v1, null, 0, -1, s1
	s_delay_alu instid0(VALU_DEP_2) | instskip(NEXT) | instid1(VALU_DEP_2)
	v_cndmask_b32_e64 v168, v0, v232, s0
	v_cndmask_b32_e64 v169, v1, 0, s0
	s_delay_alu instid0(VALU_DEP_1) | instskip(NEXT) | instid1(VALU_DEP_1)
	v_lshlrev_b64_e32 v[0:1], 4, v[168:169]
	v_add_co_u32 v0, s1, s2, v0
	s_wait_alu 0xf1ff
	s_delay_alu instid0(VALU_DEP_2)
	v_add_co_ci_u32_e64 v1, s1, s3, v1, s1
	v_cmp_lt_u16_e64 s1, 27, v232
	global_load_b128 v[169:172], v[0:1], off offset:384
	s_wait_loadcnt_dscnt 0x3
	v_mul_f64_e32 v[0:1], v[166:167], v[171:172]
	v_mul_f64_e32 v[2:3], v[164:165], v[171:172]
	scratch_store_b128 off, v[169:172], off offset:612 ; 16-byte Folded Spill
	v_fma_f64 v[0:1], v[164:165], v[169:170], -v[0:1]
	v_lshrrev_b16 v164, 2, v173
	v_fma_f64 v[2:3], v[166:167], v[169:170], v[2:3]
	s_delay_alu instid0(VALU_DEP_2) | instskip(NEXT) | instid1(VALU_DEP_1)
	v_and_b32_e32 v164, 63, v164
	v_mul_lo_u16 v164, v164, 37
	s_delay_alu instid0(VALU_DEP_1) | instskip(NEXT) | instid1(VALU_DEP_1)
	v_lshrrev_b16 v175, 8, v164
	v_mul_lo_u16 v164, v175, 28
	s_delay_alu instid0(VALU_DEP_1) | instskip(NEXT) | instid1(VALU_DEP_1)
	v_sub_nc_u16 v164, v173, v164
	v_and_b32_e32 v201, 0xff, v164
	s_delay_alu instid0(VALU_DEP_1)
	v_lshlrev_b32_e32 v164, 4, v201
	v_add_f64_e64 v[0:1], v[72:73], -v[0:1]
	v_add_f64_e64 v[2:3], v[74:75], -v[2:3]
	global_load_b128 v[169:172], v164, s[2:3] offset:384
	v_fma_f64 v[72:73], v[72:73], 2.0, -v[0:1]
	v_fma_f64 v[74:75], v[74:75], 2.0, -v[2:3]
	s_wait_loadcnt 0x0
	v_mul_f64_e32 v[164:165], v[162:163], v[171:172]
	scratch_store_b128 off, v[169:172], off offset:716 ; 16-byte Folded Spill
	v_fma_f64 v[164:165], v[160:161], v[169:170], -v[164:165]
	v_mul_f64_e32 v[160:161], v[160:161], v[171:172]
	s_delay_alu instid0(VALU_DEP_1) | instskip(SKIP_1) | instid1(VALU_DEP_1)
	v_fma_f64 v[160:161], v[162:163], v[169:170], v[160:161]
	v_lshrrev_b16 v162, 2, v235
	v_and_b32_e32 v162, 63, v162
	s_delay_alu instid0(VALU_DEP_1) | instskip(NEXT) | instid1(VALU_DEP_1)
	v_mul_lo_u16 v162, v162, 37
	v_lshrrev_b16 v202, 8, v162
	s_delay_alu instid0(VALU_DEP_1) | instskip(NEXT) | instid1(VALU_DEP_1)
	v_mul_lo_u16 v162, v202, 28
	v_sub_nc_u16 v162, v235, v162
	s_delay_alu instid0(VALU_DEP_1) | instskip(NEXT) | instid1(VALU_DEP_1)
	v_and_b32_e32 v203, 0xff, v162
	v_lshlrev_b32_e32 v162, 4, v203
	global_load_b128 v[169:172], v162, s[2:3] offset:384
	s_wait_loadcnt 0x0
	v_mul_f64_e32 v[162:163], v[158:159], v[171:172]
	scratch_store_b128 off, v[169:172], off offset:732 ; 16-byte Folded Spill
	v_fma_f64 v[162:163], v[156:157], v[169:170], -v[162:163]
	v_mul_f64_e32 v[156:157], v[156:157], v[171:172]
	s_delay_alu instid0(VALU_DEP_1) | instskip(SKIP_1) | instid1(VALU_DEP_1)
	v_fma_f64 v[156:157], v[158:159], v[169:170], v[156:157]
	v_lshrrev_b16 v158, 2, v234
	v_and_b32_e32 v158, 63, v158
	s_delay_alu instid0(VALU_DEP_1) | instskip(NEXT) | instid1(VALU_DEP_1)
	v_mul_lo_u16 v158, v158, 37
	v_lshrrev_b16 v204, 8, v158
	s_delay_alu instid0(VALU_DEP_1) | instskip(NEXT) | instid1(VALU_DEP_1)
	v_mul_lo_u16 v158, v204, 28
	v_sub_nc_u16 v158, v234, v158
	s_delay_alu instid0(VALU_DEP_1) | instskip(NEXT) | instid1(VALU_DEP_1)
	v_and_b32_e32 v205, 0xff, v158
	v_lshlrev_b32_e32 v158, 4, v205
	global_load_b128 v[169:172], v158, s[2:3] offset:384
	s_wait_loadcnt 0x0
	v_mul_f64_e32 v[158:159], v[154:155], v[171:172]
	scratch_store_b128 off, v[169:172], off offset:748 ; 16-byte Folded Spill
	v_fma_f64 v[158:159], v[152:153], v[169:170], -v[158:159]
	v_mul_f64_e32 v[152:153], v[152:153], v[171:172]
	s_delay_alu instid0(VALU_DEP_1) | instskip(SKIP_1) | instid1(VALU_DEP_1)
	v_fma_f64 v[152:153], v[154:155], v[169:170], v[152:153]
	v_lshrrev_b16 v154, 2, v233
	v_and_b32_e32 v154, 0xffff, v154
	s_delay_alu instid0(VALU_DEP_1) | instskip(NEXT) | instid1(VALU_DEP_1)
	v_mul_u32_u24_e32 v154, 0x4925, v154
	v_lshrrev_b32_e32 v206, 17, v154
	s_delay_alu instid0(VALU_DEP_1) | instskip(NEXT) | instid1(VALU_DEP_1)
	v_mul_lo_u16 v154, v206, 28
	v_sub_nc_u16 v207, v233, v154
	s_delay_alu instid0(VALU_DEP_1) | instskip(NEXT) | instid1(VALU_DEP_1)
	v_and_b32_e32 v154, 0xffff, v207
	v_lshlrev_b32_e32 v154, 4, v154
	global_load_b128 v[169:172], v154, s[2:3] offset:384
	s_wait_loadcnt 0x0
	v_mul_f64_e32 v[154:155], v[126:127], v[171:172]
	scratch_store_b128 off, v[169:172], off offset:764 ; 16-byte Folded Spill
	v_fma_f64 v[154:155], v[124:125], v[169:170], -v[154:155]
	v_mul_f64_e32 v[124:125], v[124:125], v[171:172]
	s_delay_alu instid0(VALU_DEP_1) | instskip(SKIP_1) | instid1(VALU_DEP_1)
	v_fma_f64 v[124:125], v[126:127], v[169:170], v[124:125]
	v_lshrrev_b16 v126, 2, v174
	v_and_b32_e32 v126, 0xffff, v126
	s_delay_alu instid0(VALU_DEP_1) | instskip(NEXT) | instid1(VALU_DEP_1)
	v_mul_u32_u24_e32 v126, 0x4925, v126
	v_lshrrev_b32_e32 v208, 17, v126
	s_delay_alu instid0(VALU_DEP_1) | instskip(NEXT) | instid1(VALU_DEP_1)
	v_mul_lo_u16 v126, v208, 28
	v_sub_nc_u16 v209, v174, v126
	s_delay_alu instid0(VALU_DEP_1) | instskip(NEXT) | instid1(VALU_DEP_1)
	v_and_b32_e32 v126, 0xffff, v209
	v_lshlrev_b32_e32 v126, 4, v126
	global_load_b128 v[169:172], v126, s[2:3] offset:384
	s_wait_loadcnt 0x0
	v_mul_f64_e32 v[126:127], v[122:123], v[171:172]
	scratch_store_b128 off, v[169:172], off offset:780 ; 16-byte Folded Spill
	v_fma_f64 v[126:127], v[120:121], v[169:170], -v[126:127]
	v_mul_f64_e32 v[120:121], v[120:121], v[171:172]
	s_delay_alu instid0(VALU_DEP_1) | instskip(SKIP_3) | instid1(VALU_DEP_1)
	v_fma_f64 v[120:121], v[122:123], v[169:170], v[120:121]
	scratch_load_b32 v123, off, off offset:636 th:TH_LOAD_LU ; 4-byte Folded Reload
	s_wait_loadcnt 0x0
	v_lshrrev_b16 v122, 2, v123
	v_and_b32_e32 v122, 0xffff, v122
	s_delay_alu instid0(VALU_DEP_1) | instskip(NEXT) | instid1(VALU_DEP_1)
	v_mul_u32_u24_e32 v122, 0x4925, v122
	v_lshrrev_b32_e32 v210, 17, v122
	s_delay_alu instid0(VALU_DEP_1) | instskip(NEXT) | instid1(VALU_DEP_1)
	v_mul_lo_u16 v122, v210, 28
	v_sub_nc_u16 v211, v123, v122
	s_delay_alu instid0(VALU_DEP_1) | instskip(NEXT) | instid1(VALU_DEP_1)
	v_and_b32_e32 v122, 0xffff, v211
	v_lshlrev_b32_e32 v122, 4, v122
	global_load_b128 v[169:172], v122, s[2:3] offset:384
	s_wait_loadcnt 0x0
	v_mul_f64_e32 v[122:123], v[118:119], v[171:172]
	scratch_store_b128 off, v[169:172], off offset:796 ; 16-byte Folded Spill
	v_fma_f64 v[122:123], v[116:117], v[169:170], -v[122:123]
	v_mul_f64_e32 v[116:117], v[116:117], v[171:172]
	s_delay_alu instid0(VALU_DEP_1) | instskip(SKIP_3) | instid1(VALU_DEP_1)
	v_fma_f64 v[116:117], v[118:119], v[169:170], v[116:117]
	scratch_load_b32 v119, off, off offset:632 th:TH_LOAD_LU ; 4-byte Folded Reload
	s_wait_loadcnt 0x0
	v_lshrrev_b16 v118, 2, v119
	v_and_b32_e32 v118, 0xffff, v118
	s_delay_alu instid0(VALU_DEP_1) | instskip(NEXT) | instid1(VALU_DEP_1)
	v_mul_u32_u24_e32 v118, 0x4925, v118
	v_lshrrev_b32_e32 v212, 17, v118
	s_delay_alu instid0(VALU_DEP_1) | instskip(NEXT) | instid1(VALU_DEP_1)
	v_mul_lo_u16 v118, v212, 28
	v_sub_nc_u16 v213, v119, v118
	s_delay_alu instid0(VALU_DEP_1) | instskip(NEXT) | instid1(VALU_DEP_1)
	v_and_b32_e32 v118, 0xffff, v213
	v_lshlrev_b32_e32 v118, 4, v118
	global_load_b128 v[169:172], v118, s[2:3] offset:384
	s_wait_loadcnt 0x0
	v_mul_f64_e32 v[118:119], v[114:115], v[171:172]
	scratch_store_b128 off, v[169:172], off offset:812 ; 16-byte Folded Spill
	v_fma_f64 v[118:119], v[112:113], v[169:170], -v[118:119]
	v_mul_f64_e32 v[112:113], v[112:113], v[171:172]
	s_delay_alu instid0(VALU_DEP_1) | instskip(SKIP_3) | instid1(VALU_DEP_1)
	v_fma_f64 v[112:113], v[114:115], v[169:170], v[112:113]
	scratch_load_b64 v[114:115], off, off offset:4 ; 8-byte Folded Reload
	s_wait_loadcnt 0x0
	v_mov_b32_e32 v115, v114
	v_lshrrev_b16 v114, 2, v115
	s_delay_alu instid0(VALU_DEP_1) | instskip(NEXT) | instid1(VALU_DEP_1)
	v_and_b32_e32 v114, 0xffff, v114
	v_mul_u32_u24_e32 v114, 0x4925, v114
	s_delay_alu instid0(VALU_DEP_1) | instskip(NEXT) | instid1(VALU_DEP_1)
	v_lshrrev_b32_e32 v214, 17, v114
	v_mul_lo_u16 v114, v214, 28
	s_delay_alu instid0(VALU_DEP_1) | instskip(NEXT) | instid1(VALU_DEP_1)
	v_sub_nc_u16 v215, v115, v114
	v_and_b32_e32 v114, 0xffff, v215
	s_delay_alu instid0(VALU_DEP_1)
	v_lshlrev_b32_e32 v114, 4, v114
	global_load_b128 v[169:172], v114, s[2:3] offset:384
	s_wait_loadcnt 0x0
	v_mul_f64_e32 v[114:115], v[110:111], v[171:172]
	scratch_store_b128 off, v[169:172], off offset:828 ; 16-byte Folded Spill
	v_fma_f64 v[114:115], v[108:109], v[169:170], -v[114:115]
	v_mul_f64_e32 v[108:109], v[108:109], v[171:172]
	s_delay_alu instid0(VALU_DEP_1) | instskip(SKIP_1) | instid1(VALU_DEP_1)
	v_fma_f64 v[108:109], v[110:111], v[169:170], v[108:109]
	v_add_nc_u16 v110, v232, 0x1f8
	v_lshrrev_b16 v111, 2, v110
	s_delay_alu instid0(VALU_DEP_1) | instskip(NEXT) | instid1(VALU_DEP_1)
	v_and_b32_e32 v111, 0xffff, v111
	v_mul_u32_u24_e32 v111, 0x4925, v111
	s_delay_alu instid0(VALU_DEP_1) | instskip(NEXT) | instid1(VALU_DEP_1)
	v_lshrrev_b32_e32 v216, 17, v111
	v_mul_lo_u16 v111, v216, 28
	s_delay_alu instid0(VALU_DEP_1) | instskip(NEXT) | instid1(VALU_DEP_1)
	v_sub_nc_u16 v217, v110, v111
	v_and_b32_e32 v110, 0xffff, v217
	s_delay_alu instid0(VALU_DEP_1)
	v_lshlrev_b32_e32 v110, 4, v110
	global_load_b128 v[169:172], v110, s[2:3] offset:384
	s_wait_loadcnt 0x0
	v_mul_f64_e32 v[110:111], v[106:107], v[171:172]
	scratch_store_b128 off, v[169:172], off offset:884 ; 16-byte Folded Spill
	v_fma_f64 v[110:111], v[104:105], v[169:170], -v[110:111]
	v_mul_f64_e32 v[104:105], v[104:105], v[171:172]
	s_delay_alu instid0(VALU_DEP_1) | instskip(SKIP_1) | instid1(VALU_DEP_1)
	v_fma_f64 v[106:107], v[106:107], v[169:170], v[104:105]
	v_add_nc_u16 v104, v232, 0x230
	v_lshrrev_b16 v105, 2, v104
	s_delay_alu instid0(VALU_DEP_1) | instskip(NEXT) | instid1(VALU_DEP_1)
	v_and_b32_e32 v105, 0xffff, v105
	v_mul_u32_u24_e32 v105, 0x4925, v105
	s_delay_alu instid0(VALU_DEP_1) | instskip(NEXT) | instid1(VALU_DEP_1)
	v_lshrrev_b32_e32 v218, 17, v105
	v_mul_lo_u16 v105, v218, 28
	s_delay_alu instid0(VALU_DEP_1) | instskip(NEXT) | instid1(VALU_DEP_1)
	v_sub_nc_u16 v219, v104, v105
	v_and_b32_e32 v104, 0xffff, v219
	v_add_f64_e64 v[106:107], v[38:39], -v[106:107]
	s_delay_alu instid0(VALU_DEP_2)
	v_lshlrev_b32_e32 v104, 4, v104
	global_load_b128 v[169:172], v104, s[2:3] offset:384
	v_fma_f64 v[38:39], v[38:39], 2.0, -v[106:107]
	s_wait_loadcnt 0x0
	v_mul_f64_e32 v[104:105], v[102:103], v[171:172]
	scratch_store_b128 off, v[169:172], off offset:904 ; 16-byte Folded Spill
	v_fma_f64 v[166:167], v[100:101], v[169:170], -v[104:105]
	v_mul_f64_e32 v[100:101], v[100:101], v[171:172]
	s_delay_alu instid0(VALU_DEP_1) | instskip(SKIP_1) | instid1(VALU_DEP_1)
	v_fma_f64 v[169:170], v[102:103], v[169:170], v[100:101]
	v_add_nc_u16 v100, v232, 0x268
	v_lshrrev_b16 v101, 2, v100
	s_delay_alu instid0(VALU_DEP_1) | instskip(NEXT) | instid1(VALU_DEP_1)
	v_and_b32_e32 v101, 0xffff, v101
	v_mul_u32_u24_e32 v101, 0x4925, v101
	s_delay_alu instid0(VALU_DEP_1) | instskip(NEXT) | instid1(VALU_DEP_1)
	v_lshrrev_b32_e32 v220, 17, v101
	v_mul_lo_u16 v101, v220, 28
	s_delay_alu instid0(VALU_DEP_1) | instskip(NEXT) | instid1(VALU_DEP_1)
	v_sub_nc_u16 v221, v100, v101
	v_and_b32_e32 v100, 0xffff, v221
	s_delay_alu instid0(VALU_DEP_1) | instskip(SKIP_3) | instid1(VALU_DEP_1)
	v_lshlrev_b32_e32 v100, 4, v100
	global_load_b128 v[102:105], v100, s[2:3] offset:384
	s_wait_loadcnt 0x0
	v_mul_f64_e32 v[100:101], v[98:99], v[104:105]
	v_fma_f64 v[171:172], v[96:97], v[102:103], -v[100:101]
	v_mul_f64_e32 v[96:97], v[96:97], v[104:105]
	s_delay_alu instid0(VALU_DEP_1) | instskip(SKIP_1) | instid1(VALU_DEP_1)
	v_fma_f64 v[173:174], v[98:99], v[102:103], v[96:97]
	v_add_nc_u16 v96, v232, 0x2a0
	v_lshrrev_b16 v97, 2, v96
	s_delay_alu instid0(VALU_DEP_1) | instskip(NEXT) | instid1(VALU_DEP_1)
	v_and_b32_e32 v97, 0xffff, v97
	v_mul_u32_u24_e32 v97, 0x4925, v97
	s_delay_alu instid0(VALU_DEP_1) | instskip(NEXT) | instid1(VALU_DEP_1)
	v_lshrrev_b32_e32 v222, 17, v97
	v_mul_lo_u16 v97, v222, 28
	s_delay_alu instid0(VALU_DEP_1) | instskip(NEXT) | instid1(VALU_DEP_1)
	v_sub_nc_u16 v223, v96, v97
	v_and_b32_e32 v96, 0xffff, v223
	s_delay_alu instid0(VALU_DEP_1) | instskip(SKIP_3) | instid1(VALU_DEP_1)
	v_lshlrev_b32_e32 v96, 4, v96
	global_load_b128 v[98:101], v96, s[2:3] offset:384
	s_wait_loadcnt 0x0
	v_mul_f64_e32 v[96:97], v[94:95], v[100:101]
	v_fma_f64 v[177:178], v[92:93], v[98:99], -v[96:97]
	v_mul_f64_e32 v[92:93], v[92:93], v[100:101]
	s_delay_alu instid0(VALU_DEP_1) | instskip(SKIP_1) | instid1(VALU_DEP_1)
	v_fma_f64 v[179:180], v[94:95], v[98:99], v[92:93]
	v_add_nc_u16 v92, v232, 0x2d8
	v_lshrrev_b16 v93, 2, v92
	s_delay_alu instid0(VALU_DEP_1) | instskip(NEXT) | instid1(VALU_DEP_1)
	v_and_b32_e32 v93, 0xffff, v93
	v_mul_u32_u24_e32 v93, 0x4925, v93
	s_delay_alu instid0(VALU_DEP_1) | instskip(NEXT) | instid1(VALU_DEP_1)
	v_lshrrev_b32_e32 v224, 17, v93
	v_mul_lo_u16 v93, v224, 28
	s_delay_alu instid0(VALU_DEP_1) | instskip(NEXT) | instid1(VALU_DEP_1)
	v_sub_nc_u16 v225, v92, v93
	v_and_b32_e32 v92, 0xffff, v225
	s_delay_alu instid0(VALU_DEP_1)
	v_lshlrev_b32_e32 v92, 4, v92
	global_load_b128 v[94:97], v92, s[2:3] offset:384
	scratch_store_b128 off, v[98:101], off offset:940 ; 16-byte Folded Spill
	v_add_f64_e64 v[98:99], v[46:47], -v[112:113]
	v_add_f64_e64 v[100:101], v[40:41], -v[114:115]
	;; [unrolled: 1-line block ×4, first 2 shown]
	s_delay_alu instid0(VALU_DEP_4) | instskip(NEXT) | instid1(VALU_DEP_4)
	v_fma_f64 v[46:47], v[46:47], 2.0, -v[98:99]
	v_fma_f64 v[40:41], v[40:41], 2.0, -v[100:101]
	s_delay_alu instid0(VALU_DEP_4) | instskip(NEXT) | instid1(VALU_DEP_4)
	v_fma_f64 v[28:29], v[28:29], 2.0, -v[112:113]
	v_fma_f64 v[30:31], v[30:31], 2.0, -v[114:115]
	s_wait_loadcnt 0x0
	scratch_store_b128 off, v[94:97], off offset:956 ; 16-byte Folded Spill
	v_mul_f64_e32 v[92:93], v[90:91], v[96:97]
	s_delay_alu instid0(VALU_DEP_1) | instskip(SKIP_3) | instid1(VALU_DEP_3)
	v_fma_f64 v[181:182], v[88:89], v[94:95], -v[92:93]
	v_mul_f64_e32 v[88:89], v[88:89], v[96:97]
	v_add_f64_e64 v[96:97], v[44:45], -v[118:119]
	v_add_f64_e64 v[118:119], v[26:27], -v[179:180]
	v_fma_f64 v[183:184], v[90:91], v[94:95], v[88:89]
	v_add_nc_u16 v88, v232, 0x310
	v_add_f64_e64 v[94:95], v[50:51], -v[116:117]
	v_fma_f64 v[44:45], v[44:45], 2.0, -v[96:97]
	v_add_f64_e64 v[116:117], v[24:25], -v[177:178]
	v_fma_f64 v[26:27], v[26:27], 2.0, -v[118:119]
	v_lshrrev_b16 v89, 2, v88
	s_delay_alu instid0(VALU_DEP_1) | instskip(NEXT) | instid1(VALU_DEP_1)
	v_and_b32_e32 v89, 0xffff, v89
	v_mul_u32_u24_e32 v89, 0x4925, v89
	s_delay_alu instid0(VALU_DEP_1) | instskip(NEXT) | instid1(VALU_DEP_1)
	v_lshrrev_b32_e32 v226, 17, v89
	v_mul_lo_u16 v89, v226, 28
	s_delay_alu instid0(VALU_DEP_1) | instskip(NEXT) | instid1(VALU_DEP_1)
	v_sub_nc_u16 v227, v88, v89
	v_and_b32_e32 v88, 0xffff, v227
	v_fma_f64 v[50:51], v[50:51], 2.0, -v[94:95]
	s_delay_alu instid0(VALU_DEP_2) | instskip(SKIP_4) | instid1(VALU_DEP_1)
	v_lshlrev_b32_e32 v88, 4, v88
	v_fma_f64 v[24:25], v[24:25], 2.0, -v[116:117]
	global_load_b128 v[90:93], v88, s[2:3] offset:384
	s_wait_loadcnt 0x0
	v_mul_f64_e32 v[88:89], v[86:87], v[92:93]
	v_fma_f64 v[185:186], v[84:85], v[90:91], -v[88:89]
	v_mul_f64_e32 v[84:85], v[84:85], v[92:93]
	s_delay_alu instid0(VALU_DEP_1) | instskip(SKIP_1) | instid1(VALU_DEP_1)
	v_fma_f64 v[187:188], v[86:87], v[90:91], v[84:85]
	v_add_nc_u16 v84, v232, 0x348
	v_lshrrev_b16 v85, 2, v84
	s_delay_alu instid0(VALU_DEP_1) | instskip(NEXT) | instid1(VALU_DEP_1)
	v_and_b32_e32 v85, 0xffff, v85
	v_mul_u32_u24_e32 v85, 0x4925, v85
	s_delay_alu instid0(VALU_DEP_1) | instskip(NEXT) | instid1(VALU_DEP_1)
	v_lshrrev_b32_e32 v228, 17, v85
	v_mul_lo_u16 v85, v228, 28
	s_delay_alu instid0(VALU_DEP_1) | instskip(NEXT) | instid1(VALU_DEP_1)
	v_sub_nc_u16 v229, v84, v85
	v_and_b32_e32 v84, 0xffff, v229
	s_delay_alu instid0(VALU_DEP_1)
	v_lshlrev_b32_e32 v84, 4, v84
	global_load_b128 v[86:89], v84, s[2:3] offset:384
	scratch_store_b128 off, v[90:93], off offset:972 ; 16-byte Folded Spill
	v_add_f64_e64 v[90:91], v[54:55], -v[120:121]
	v_add_f64_e64 v[92:93], v[48:49], -v[122:123]
	;; [unrolled: 1-line block ×4, first 2 shown]
	s_delay_alu instid0(VALU_DEP_4) | instskip(NEXT) | instid1(VALU_DEP_4)
	v_fma_f64 v[54:55], v[54:55], 2.0, -v[90:91]
	v_fma_f64 v[48:49], v[48:49], 2.0, -v[92:93]
	s_delay_alu instid0(VALU_DEP_4) | instskip(NEXT) | instid1(VALU_DEP_4)
	v_fma_f64 v[20:21], v[20:21], 2.0, -v[120:121]
	v_fma_f64 v[22:23], v[22:23], 2.0, -v[122:123]
	s_wait_loadcnt 0x0
	scratch_store_b128 off, v[86:89], off offset:988 ; 16-byte Folded Spill
	s_wait_dscnt 0x1
	v_mul_f64_e32 v[84:85], v[82:83], v[88:89]
	s_delay_alu instid0(VALU_DEP_1) | instskip(SKIP_3) | instid1(VALU_DEP_3)
	v_fma_f64 v[189:190], v[80:81], v[86:87], -v[84:85]
	v_mul_f64_e32 v[80:81], v[80:81], v[88:89]
	v_add_f64_e64 v[88:89], v[52:53], -v[126:127]
	v_add_f64_e64 v[126:127], v[18:19], -v[187:188]
	v_fma_f64 v[191:192], v[82:83], v[86:87], v[80:81]
	v_or_b32_e32 v80, 0x380, v232
	v_add_f64_e64 v[86:87], v[58:59], -v[124:125]
	v_fma_f64 v[52:53], v[52:53], 2.0, -v[88:89]
	v_add_f64_e64 v[124:125], v[16:17], -v[185:186]
	v_fma_f64 v[18:19], v[18:19], 2.0, -v[126:127]
	v_lshrrev_b16 v81, 2, v80
	s_delay_alu instid0(VALU_DEP_1) | instskip(NEXT) | instid1(VALU_DEP_1)
	v_and_b32_e32 v81, 0xffff, v81
	v_mul_u32_u24_e32 v81, 0x4925, v81
	s_delay_alu instid0(VALU_DEP_1) | instskip(NEXT) | instid1(VALU_DEP_1)
	v_lshrrev_b32_e32 v230, 17, v81
	v_mul_lo_u16 v81, v230, 28
	s_delay_alu instid0(VALU_DEP_1) | instskip(NEXT) | instid1(VALU_DEP_1)
	v_sub_nc_u16 v231, v80, v81
	v_and_b32_e32 v80, 0xffff, v231
	v_fma_f64 v[58:59], v[58:59], 2.0, -v[86:87]
	s_delay_alu instid0(VALU_DEP_2)
	v_lshlrev_b32_e32 v80, 4, v80
	v_fma_f64 v[16:17], v[16:17], 2.0, -v[124:125]
	global_load_b128 v[82:85], v80, s[2:3] offset:384
	s_wait_loadcnt_dscnt 0x0
	v_mul_f64_e32 v[80:81], v[78:79], v[84:85]
	scratch_store_b128 off, v[82:85], off offset:1004 ; 16-byte Folded Spill
	v_fma_f64 v[193:194], v[76:77], v[82:83], -v[80:81]
	v_mul_f64_e32 v[76:77], v[76:77], v[84:85]
	s_delay_alu instid0(VALU_DEP_1) | instskip(SKIP_1) | instid1(VALU_DEP_1)
	v_fma_f64 v[195:196], v[78:79], v[82:83], v[76:77]
	v_add_nc_u16 v76, v232, 0x3b8
	v_lshrrev_b16 v77, 2, v76
	s_delay_alu instid0(VALU_DEP_1) | instskip(NEXT) | instid1(VALU_DEP_1)
	v_and_b32_e32 v77, 0xffff, v77
	v_mul_u32_u24_e32 v77, 0x4925, v77
	s_delay_alu instid0(VALU_DEP_1) | instskip(NEXT) | instid1(VALU_DEP_1)
	v_lshrrev_b32_e32 v77, 17, v77
	v_mul_lo_u16 v77, v77, 28
	s_delay_alu instid0(VALU_DEP_1) | instskip(NEXT) | instid1(VALU_DEP_1)
	v_sub_nc_u16 v76, v76, v77
	v_and_b32_e32 v76, 0xffff, v76
	s_delay_alu instid0(VALU_DEP_1)
	v_lshlrev_b32_e32 v76, 4, v76
	scratch_store_b128 off, v[102:105], off offset:924 ; 16-byte Folded Spill
	v_add_f64_e64 v[102:103], v[42:43], -v[108:109]
	v_add_f64_e64 v[104:105], v[36:37], -v[110:111]
	;; [unrolled: 1-line block ×3, first 2 shown]
	scratch_store_b32 off, v76, off offset:628 ; 4-byte Folded Spill
	global_load_b128 v[78:81], v76, s[2:3] offset:384
	scratch_load_b128 v[82:85], off, off offset:28 th:TH_LOAD_LU ; 16-byte Folded Reload
	v_add_f64_e64 v[110:111], v[34:35], -v[169:170]
	v_fma_f64 v[42:43], v[42:43], 2.0, -v[102:103]
	v_fma_f64 v[36:37], v[36:37], 2.0, -v[104:105]
	;; [unrolled: 1-line block ×3, first 2 shown]
	s_delay_alu instid0(VALU_DEP_4)
	v_fma_f64 v[34:35], v[34:35], 2.0, -v[110:111]
	s_wait_loadcnt 0x1
	scratch_store_b128 off, v[78:81], off offset:1728 ; 16-byte Folded Spill
	s_wait_loadcnt 0x0
	v_mul_f64_e32 v[76:77], v[84:85], v[80:81]
	global_wb scope:SCOPE_SE
	s_wait_storecnt 0x0
	s_barrier_signal -1
	s_barrier_wait -1
	global_inv scope:SCOPE_SE
	v_fma_f64 v[197:198], v[82:83], v[78:79], -v[76:77]
	v_mul_f64_e32 v[76:77], v[82:83], v[80:81]
	v_add_f64_e64 v[80:81], v[60:61], -v[158:159]
	v_add_f64_e64 v[82:83], v[62:63], -v[152:153]
	;; [unrolled: 1-line block ×4, first 2 shown]
	v_fma_f64 v[199:200], v[84:85], v[78:79], v[76:77]
	s_wait_alu 0xf1ff
	v_cndmask_b32_e64 v76, 0, 56, s1
	v_add_f64_e64 v[78:79], v[66:67], -v[156:157]
	v_add_f64_e64 v[84:85], v[56:57], -v[154:155]
	v_fma_f64 v[60:61], v[60:61], 2.0, -v[80:81]
	v_fma_f64 v[62:63], v[62:63], 2.0, -v[82:83]
	v_add_lshl_u32 v168, v168, v76, 4
	v_add_f64_e64 v[76:77], v[64:65], -v[162:163]
	v_add_f64_e64 v[154:155], v[14:15], -v[191:192]
	;; [unrolled: 1-line block ×3, first 2 shown]
	v_fma_f64 v[12:13], v[12:13], 2.0, -v[152:153]
	ds_store_b128 v168, v[0:3] offset:448
	ds_store_b128 v168, v[72:75]
	v_add_f64_e64 v[0:1], v[68:69], -v[164:165]
	v_add_f64_e64 v[2:3], v[70:71], -v[160:161]
	v_and_b32_e32 v72, 0xffff, v175
	v_fma_f64 v[10:11], v[10:11], 2.0, -v[158:159]
	s_delay_alu instid0(VALU_DEP_2) | instskip(NEXT) | instid1(VALU_DEP_1)
	v_mul_u32_u24_e32 v72, 56, v72
	v_add_lshl_u32 v72, v72, v201, 4
	v_fma_f64 v[66:67], v[66:67], 2.0, -v[78:79]
	v_fma_f64 v[56:57], v[56:57], 2.0, -v[84:85]
	v_fma_f64 v[64:65], v[64:65], 2.0, -v[76:77]
	v_fma_f64 v[14:15], v[14:15], 2.0, -v[154:155]
	v_fma_f64 v[8:9], v[8:9], 2.0, -v[156:157]
	v_fma_f64 v[68:69], v[68:69], 2.0, -v[0:1]
	v_fma_f64 v[70:71], v[70:71], 2.0, -v[2:3]
	ds_store_b128 v72, v[0:3] offset:448
	v_and_b32_e32 v0, 0xffff, v202
	s_delay_alu instid0(VALU_DEP_1) | instskip(NEXT) | instid1(VALU_DEP_1)
	v_mul_u32_u24_e32 v0, 56, v0
	v_add_lshl_u32 v0, v0, v203, 4
	scratch_store_b32 off, v0, off offset:900 ; 4-byte Folded Spill
	ds_store_b128 v72, v[68:71]
	ds_store_b128 v0, v[64:67]
	ds_store_b128 v0, v[76:79] offset:448
	v_and_b32_e32 v0, 0xffff, v204
	s_delay_alu instid0(VALU_DEP_1) | instskip(NEXT) | instid1(VALU_DEP_1)
	v_mul_u32_u24_e32 v0, 56, v0
	v_add_lshl_u32 v0, v0, v205, 4
	ds_store_b128 v0, v[60:63]
	ds_store_b128 v0, v[80:83] offset:448
	scratch_store_b32 off, v0, off offset:880 ; 4-byte Folded Spill
	v_mad_u16 v0, v206, 56, v207
	s_delay_alu instid0(VALU_DEP_1) | instskip(NEXT) | instid1(VALU_DEP_1)
	v_and_b32_e32 v0, 0xffff, v0
	v_lshlrev_b32_e32 v0, 4, v0
	ds_store_b128 v0, v[56:59]
	ds_store_b128 v0, v[84:87] offset:448
	scratch_store_b32 off, v0, off offset:844 ; 4-byte Folded Spill
	v_mad_u16 v0, v208, 56, v209
	s_delay_alu instid0(VALU_DEP_1) | instskip(NEXT) | instid1(VALU_DEP_1)
	v_and_b32_e32 v0, 0xffff, v0
	v_lshlrev_b32_e32 v0, 4, v0
	;; [unrolled: 7-line block ×6, first 2 shown]
	ds_store_b128 v0, v[104:107] offset:448
	ds_store_b128 v0, v[36:39]
	scratch_store_b32 off, v0, off offset:692 ; 4-byte Folded Spill
	v_mad_u16 v0, v218, 56, v219
	s_delay_alu instid0(VALU_DEP_1) | instskip(NEXT) | instid1(VALU_DEP_1)
	v_and_b32_e32 v0, 0xffff, v0
	v_lshlrev_b32_e32 v0, 4, v0
	ds_store_b128 v0, v[32:35]
	ds_store_b128 v0, v[108:111] offset:448
	scratch_store_b32 off, v0, off offset:672 ; 4-byte Folded Spill
	v_mad_u16 v0, v220, 56, v221
	s_delay_alu instid0(VALU_DEP_1) | instskip(NEXT) | instid1(VALU_DEP_1)
	v_and_b32_e32 v0, 0xffff, v0
	v_lshlrev_b32_e32 v0, 4, v0
	ds_store_b128 v0, v[28:31]
	ds_store_b128 v0, v[112:115] offset:448
	;; [unrolled: 7-line block ×4, first 2 shown]
	scratch_store_b32 off, v0, off offset:644 ; 4-byte Folded Spill
	v_mad_u16 v0, v226, 56, v227
	s_delay_alu instid0(VALU_DEP_1) | instskip(NEXT) | instid1(VALU_DEP_1)
	v_and_b32_e32 v0, 0xffff, v0
	v_lshlrev_b32_e32 v0, 4, v0
	s_clause 0x1
	scratch_store_b32 off, v72, off offset:920
	scratch_store_b32 off, v0, off offset:640
	ds_store_b128 v0, v[16:19]
	ds_store_b128 v0, v[124:127] offset:448
	v_mad_u16 v0, v228, 56, v229
	s_delay_alu instid0(VALU_DEP_1) | instskip(NEXT) | instid1(VALU_DEP_1)
	v_and_b32_e32 v0, 0xffff, v0
	v_lshlrev_b32_e32 v0, 4, v0
	s_clause 0x1
	scratch_store_b32 off, v168, off offset:696
	scratch_store_b32 off, v0, off offset:636
	ds_store_b128 v0, v[12:15]
	ds_store_b128 v0, v[152:155] offset:448
	v_mad_u16 v0, v230, 56, v231
	s_delay_alu instid0(VALU_DEP_1) | instskip(NEXT) | instid1(VALU_DEP_1)
	v_and_b32_e32 v0, 0xffff, v0
	v_lshlrev_b32_e32 v0, 4, v0
	ds_store_b128 v0, v[8:11]
	v_add_f64_e64 v[8:9], v[4:5], -v[197:198]
	v_add_f64_e64 v[10:11], v[6:7], -v[199:200]
	s_clause 0x1
	scratch_store_b128 off, v[8:11], off offset:28
	scratch_store_b32 off, v0, off offset:632
	ds_store_b128 v0, v[156:159] offset:448
	s_and_saveexec_b32 s1, s0
	s_cbranch_execz .LBB0_11
; %bb.10:
	scratch_load_b128 v[8:11], off, off offset:28 ; 16-byte Folded Reload
	s_wait_loadcnt 0x0
	v_fma_f64 v[0:1], v[4:5], 2.0, -v[8:9]
	scratch_load_b32 v4, off, off offset:628 ; 4-byte Folded Reload
	v_fma_f64 v[2:3], v[6:7], 2.0, -v[10:11]
	s_wait_loadcnt 0x0
	ds_store_b128 v4, v[0:3] offset:30464
	ds_store_b128 v4, v[8:11] offset:30912
.LBB0_11:
	s_wait_alu 0xfffe
	s_or_b32 exec_lo, exec_lo, s1
	scratch_load_b32 v0, off, off           ; 4-byte Folded Reload
	global_wb scope:SCOPE_SE
	s_wait_storecnt 0x0
	s_wait_loadcnt_dscnt 0x0
	s_barrier_signal -1
	s_barrier_wait -1
	global_inv scope:SCOPE_SE
	s_mov_b32 s8, 0xaaaaaaaa
	s_mov_b32 s9, 0xbff2aaaa
	;; [unrolled: 1-line block ×17, first 2 shown]
	s_wait_alu 0xfffe
	s_mov_b32 s30, s24
	s_mov_b32 s29, 0xbfe77f67
	;; [unrolled: 1-line block ×3, first 2 shown]
	v_mad_co_u64_u32 v[0:1], null, 0x60, v0, s[2:3]
	s_clause 0x5
	global_load_b128 v[196:199], v[0:1], off offset:832
	global_load_b128 v[184:187], v[0:1], off offset:848
	;; [unrolled: 1-line block ×6, first 2 shown]
	v_lshrrev_b16 v0, 3, v235
	s_delay_alu instid0(VALU_DEP_1) | instskip(NEXT) | instid1(VALU_DEP_1)
	v_and_b32_e32 v0, 31, v0
	v_mul_lo_u16 v0, v0, 37
	s_delay_alu instid0(VALU_DEP_1) | instskip(NEXT) | instid1(VALU_DEP_1)
	v_lshrrev_b16 v0, 8, v0
	v_mul_lo_u16 v0, v0, 56
	s_delay_alu instid0(VALU_DEP_1) | instskip(NEXT) | instid1(VALU_DEP_1)
	v_sub_nc_u16 v0, v235, v0
	v_and_b32_e32 v0, 0xff, v0
	s_delay_alu instid0(VALU_DEP_1)
	v_mad_co_u64_u32 v[40:41], null, 0x60, v0, s[2:3]
	scratch_store_b32 off, v0, off offset:1292 ; 4-byte Folded Spill
	s_clause 0x1
	global_load_b128 v[74:77], v[40:41], off offset:832
	global_load_b128 v[70:73], v[40:41], off offset:848
	ds_load_b128 v[0:3], v176 offset:4480
	ds_load_b128 v[4:7], v176 offset:8960
	;; [unrolled: 1-line block ×9, first 2 shown]
	s_wait_loadcnt_dscnt 0x708
	v_mul_f64_e32 v[38:39], v[0:1], v[198:199]
	s_wait_loadcnt_dscnt 0x607
	v_mul_f64_e32 v[42:43], v[6:7], v[186:187]
	;; [unrolled: 2-line block ×3, first 2 shown]
	v_mul_f64_e32 v[36:37], v[2:3], v[198:199]
	v_mul_f64_e32 v[44:45], v[4:5], v[186:187]
	s_wait_loadcnt_dscnt 0x204
	v_mul_f64_e32 v[58:59], v[22:23], v[64:65]
	v_mul_f64_e32 v[60:61], v[20:21], v[64:65]
	v_mul_f64_e32 v[48:49], v[8:9], v[84:85]
	v_mul_f64_e32 v[50:51], v[14:15], v[80:81]
	v_mul_f64_e32 v[52:53], v[12:13], v[80:81]
	s_clause 0x1
	scratch_store_b128 off, v[66:69], off offset:676
	scratch_store_b128 off, v[62:65], off offset:652
	v_fma_f64 v[116:117], v[2:3], v[196:197], v[38:39]
	v_fma_f64 v[122:123], v[4:5], v[184:185], -v[42:43]
	ds_load_b128 v[2:5], v176 offset:23296
	v_fma_f64 v[126:127], v[8:9], v[82:83], -v[46:47]
	v_fma_f64 v[118:119], v[0:1], v[196:197], -v[36:37]
	;; [unrolled: 1-line block ×3, first 2 shown]
	v_fma_f64 v[46:47], v[22:23], v[62:63], v[60:61]
	ds_load_b128 v[36:39], v176 offset:18816
	v_fma_f64 v[124:125], v[10:11], v[82:83], v[48:49]
	v_fma_f64 v[154:155], v[12:13], v[78:79], -v[50:51]
	s_wait_dscnt 0x3
	v_mul_f64_e32 v[12:13], v[34:35], v[84:85]
	v_mul_f64_e32 v[54:55], v[18:19], v[68:69]
	v_fma_f64 v[120:121], v[6:7], v[184:185], v[44:45]
	v_mul_f64_e32 v[56:57], v[16:17], v[68:69]
	v_fma_f64 v[152:153], v[14:15], v[78:79], v[52:53]
	v_mul_f64_e32 v[14:15], v[32:33], v[84:85]
	v_lshrrev_b16 v0, 3, v234
	s_wait_loadcnt 0x1
	scratch_store_b128 off, v[74:77], off offset:864 ; 16-byte Folded Spill
	s_wait_loadcnt 0x0
	scratch_store_b128 off, v[70:73], off offset:848 ; 16-byte Folded Spill
	v_and_b32_e32 v0, 31, v0
	s_wait_dscnt 0x1
	v_mul_f64_e32 v[20:21], v[4:5], v[68:69]
	v_mul_f64_e32 v[22:23], v[2:3], v[68:69]
	s_delay_alu instid0(VALU_DEP_3) | instskip(NEXT) | instid1(VALU_DEP_1)
	v_mul_lo_u16 v0, v0, 37
	v_lshrrev_b16 v0, 8, v0
	s_delay_alu instid0(VALU_DEP_1) | instskip(NEXT) | instid1(VALU_DEP_1)
	v_mul_lo_u16 v0, v0, 56
	v_sub_nc_u16 v0, v234, v0
	v_add_f64_e32 v[180:181], v[118:119], v[178:179]
	v_add_f64_e32 v[188:189], v[116:117], v[46:47]
	v_add_f64_e64 v[118:119], v[118:119], -v[178:179]
	s_delay_alu instid0(VALU_DEP_4)
	v_and_b32_e32 v0, 0xff, v0
	v_add_f64_e32 v[182:183], v[126:127], v[154:155]
	v_fma_f64 v[102:103], v[32:33], v[82:83], -v[12:13]
	v_fma_f64 v[158:159], v[16:17], v[66:67], -v[54:55]
	s_wait_dscnt 0x0
	v_mul_f64_e32 v[16:17], v[38:39], v[80:81]
	v_fma_f64 v[156:157], v[18:19], v[66:67], v[56:57]
	v_mul_f64_e32 v[18:19], v[36:37], v[80:81]
	v_fma_f64 v[100:101], v[34:35], v[82:83], v[14:15]
	v_add_f64_e32 v[190:191], v[124:125], v[152:153]
	v_add_f64_e64 v[46:47], v[116:117], -v[46:47]
	scratch_store_b32 off, v0, off offset:1308 ; 4-byte Folded Spill
	v_fma_f64 v[110:111], v[2:3], v[66:67], -v[20:21]
	v_fma_f64 v[108:109], v[4:5], v[66:67], v[22:23]
	ds_load_b128 v[2:5], v176 offset:10752
	v_mul_f64_e32 v[10:11], v[30:31], v[186:187]
	v_mul_f64_e32 v[44:45], v[28:29], v[186:187]
	v_add_f64_e32 v[192:193], v[122:123], v[158:159]
	v_fma_f64 v[106:107], v[36:37], v[78:79], -v[16:17]
	v_add_f64_e32 v[194:195], v[120:121], v[156:157]
	v_fma_f64 v[104:105], v[38:39], v[78:79], v[18:19]
	v_fma_f64 v[98:99], v[28:29], v[184:185], -v[10:11]
	ds_load_b128 v[10:13], v176 offset:6272
	v_mul_f64_e32 v[6:7], v[26:27], v[198:199]
	v_mul_f64_e32 v[42:43], v[24:25], v[198:199]
	v_fma_f64 v[96:97], v[30:31], v[184:185], v[44:45]
	s_wait_dscnt 0x0
	v_mul_f64_e32 v[18:19], v[12:13], v[76:77]
	v_mul_f64_e32 v[20:21], v[10:11], v[76:77]
	v_add_f64_e64 v[116:117], v[192:193], -v[180:181]
	v_add_f64_e32 v[206:207], v[102:103], v[106:107]
	v_add_f64_e64 v[102:103], v[106:107], -v[102:103]
	v_add_f64_e32 v[210:211], v[100:101], v[104:105]
	;; [unrolled: 2-line block ×3, first 2 shown]
	v_fma_f64 v[94:95], v[24:25], v[196:197], -v[6:7]
	ds_load_b128 v[6:9], v176 offset:27776
	v_fma_f64 v[88:89], v[26:27], v[196:197], v[42:43]
	v_add_f64_e32 v[218:219], v[96:97], v[108:109]
	v_fma_f64 v[26:27], v[10:11], v[74:75], -v[18:19]
	v_fma_f64 v[22:23], v[12:13], v[74:75], v[20:21]
	s_wait_dscnt 0x0
	v_mul_f64_e32 v[16:17], v[6:7], v[64:65]
	v_mul_f64_e32 v[14:15], v[8:9], v[64:65]
	v_mad_co_u64_u32 v[12:13], null, 0x60, v0, s[2:3]
	v_lshrrev_b16 v0, 3, v233
	s_delay_alu instid0(VALU_DEP_1) | instskip(SKIP_4) | instid1(VALU_DEP_1)
	v_and_b32_e32 v0, 0xffff, v0
	s_clause 0x1
	global_load_b128 v[36:39], v[12:13], off offset:864
	global_load_b128 v[48:51], v[12:13], off offset:880
	v_mul_u32_u24_e32 v0, 0x2493, v0
	v_lshrrev_b32_e32 v0, 16, v0
	s_delay_alu instid0(VALU_DEP_1) | instskip(NEXT) | instid1(VALU_DEP_1)
	v_mul_lo_u16 v0, v0, 56
	v_sub_nc_u16 v177, v233, v0
	s_delay_alu instid0(VALU_DEP_1)
	v_mul_lo_u16 v0, 0x60, v177
	v_fma_f64 v[112:113], v[8:9], v[62:63], v[16:17]
	v_mul_f64_e32 v[8:9], v[2:3], v[72:73]
	v_fma_f64 v[114:115], v[6:7], v[62:63], -v[14:15]
	v_mul_f64_e32 v[6:7], v[4:5], v[72:73]
	v_and_b32_e32 v0, 0xffff, v0
	s_delay_alu instid0(VALU_DEP_1)
	v_add_co_u32 v64, s1, s2, v0
	s_wait_alu 0xf1ff
	v_add_co_ci_u32_e64 v65, null, s3, 0, s1
	v_add_f64_e32 v[208:209], v[88:89], v[112:113]
	v_fma_f64 v[32:33], v[4:5], v[70:71], v[8:9]
	global_load_b128 v[8:11], v[40:41], off offset:864
	v_fma_f64 v[34:35], v[2:3], v[70:71], -v[6:7]
	ds_load_b128 v[2:5], v176 offset:15232
	v_add_f64_e32 v[200:201], v[94:95], v[114:115]
	v_add_f64_e64 v[106:107], v[94:95], -v[114:115]
	v_add_f64_e64 v[94:95], v[96:97], -v[108:109]
	;; [unrolled: 1-line block ×6, first 2 shown]
	v_add_f64_e32 v[100:101], v[104:105], v[94:95]
	s_wait_loadcnt 0x2
	scratch_store_b128 off, v[36:39], off offset:1116 ; 16-byte Folded Spill
	s_wait_loadcnt 0x1
	scratch_store_b128 off, v[48:51], off offset:1132 ; 16-byte Folded Spill
	s_wait_loadcnt_dscnt 0x0
	v_mul_f64_e32 v[6:7], v[4:5], v[10:11]
	scratch_store_b128 off, v[8:11], off offset:1020 ; 16-byte Folded Spill
	v_fma_f64 v[16:17], v[2:3], v[8:9], -v[6:7]
	v_mul_f64_e32 v[2:3], v[2:3], v[10:11]
	s_delay_alu instid0(VALU_DEP_1)
	v_fma_f64 v[42:43], v[4:5], v[8:9], v[2:3]
	global_load_b128 v[8:11], v[40:41], off offset:880
	ds_load_b128 v[2:5], v176 offset:19712
	scratch_store_b128 off, v[78:81], off offset:1696 ; 16-byte Folded Spill
	s_wait_loadcnt 0x0
	scratch_store_b128 off, v[8:11], off offset:1036 ; 16-byte Folded Spill
	s_wait_dscnt 0x0
	v_mul_f64_e32 v[6:7], v[4:5], v[10:11]
	s_delay_alu instid0(VALU_DEP_1) | instskip(SKIP_1) | instid1(VALU_DEP_2)
	v_fma_f64 v[58:59], v[2:3], v[8:9], -v[6:7]
	v_mul_f64_e32 v[2:3], v[2:3], v[10:11]
	v_add_f64_e32 v[216:217], v[16:17], v[58:59]
	s_delay_alu instid0(VALU_DEP_2)
	v_fma_f64 v[56:57], v[4:5], v[8:9], v[2:3]
	global_load_b128 v[8:11], v[40:41], off offset:896
	ds_load_b128 v[2:5], v176 offset:24192
	scratch_store_b128 off, v[82:85], off offset:1712 ; 16-byte Folded Spill
	v_add_f64_e64 v[16:17], v[58:59], -v[16:17]
	ds_load_b128 v[80:83], v176 offset:3584
	s_wait_loadcnt 0x0
	scratch_store_b128 off, v[8:11], off offset:1052 ; 16-byte Folded Spill
	s_wait_dscnt 0x1
	v_mul_f64_e32 v[6:7], v[4:5], v[10:11]
	s_delay_alu instid0(VALU_DEP_1) | instskip(SKIP_1) | instid1(VALU_DEP_2)
	v_fma_f64 v[86:87], v[2:3], v[8:9], -v[6:7]
	v_mul_f64_e32 v[2:3], v[2:3], v[10:11]
	v_add_f64_e32 v[228:229], v[34:35], v[86:87]
	s_delay_alu instid0(VALU_DEP_2)
	v_fma_f64 v[84:85], v[4:5], v[8:9], v[2:3]
	global_load_b128 v[8:11], v[40:41], off offset:912
	ds_load_b128 v[2:5], v176 offset:28672
	v_add_f64_e64 v[34:35], v[34:35], -v[86:87]
	v_add_f64_e32 v[238:239], v[32:33], v[84:85]
	v_add_f64_e64 v[32:33], v[32:33], -v[84:85]
	s_delay_alu instid0(VALU_DEP_3)
	v_add_f64_e64 v[58:59], v[16:17], -v[34:35]
	s_wait_loadcnt_dscnt 0x0
	v_mul_f64_e32 v[6:7], v[4:5], v[10:11]
	scratch_store_b128 off, v[8:11], off offset:1068 ; 16-byte Folded Spill
	v_fma_f64 v[92:93], v[2:3], v[8:9], -v[6:7]
	v_mul_f64_e32 v[2:3], v[2:3], v[10:11]
	s_delay_alu instid0(VALU_DEP_2) | instskip(NEXT) | instid1(VALU_DEP_2)
	v_add_f64_e32 v[214:215], v[26:27], v[92:93]
	v_fma_f64 v[90:91], v[4:5], v[8:9], v[2:3]
	global_load_b128 v[8:11], v[12:13], off offset:832
	ds_load_b128 v[2:5], v176 offset:7168
	v_add_f64_e64 v[26:27], v[26:27], -v[92:93]
	v_add_f64_e64 v[92:93], v[216:217], -v[228:229]
	v_add_f64_e32 v[162:163], v[22:23], v[90:91]
	v_add_f64_e64 v[22:23], v[22:23], -v[90:91]
	s_delay_alu instid0(VALU_DEP_4) | instskip(NEXT) | instid1(VALU_DEP_3)
	v_add_f64_e64 v[86:87], v[34:35], -v[26:27]
	v_add_f64_e64 v[84:85], v[238:239], -v[162:163]
	s_delay_alu instid0(VALU_DEP_3) | instskip(SKIP_2) | instid1(VALU_DEP_1)
	v_add_f64_e64 v[90:91], v[32:33], -v[22:23]
	s_wait_loadcnt_dscnt 0x0
	v_mul_f64_e32 v[6:7], v[4:5], v[10:11]
	v_fma_f64 v[68:69], v[2:3], v[8:9], -v[6:7]
	v_mul_f64_e32 v[2:3], v[2:3], v[10:11]
	s_delay_alu instid0(VALU_DEP_2) | instskip(NEXT) | instid1(VALU_DEP_2)
	v_mov_b32_e32 v175, v69
	v_fma_f64 v[70:71], v[4:5], v[8:9], v[2:3]
	global_load_b128 v[4:7], v[12:13], off offset:848
	scratch_store_b128 off, v[8:11], off offset:1084 ; 16-byte Folded Spill
	ds_load_b128 v[8:11], v176 offset:11648
	v_mov_b32_e32 v174, v68
	s_wait_loadcnt_dscnt 0x0
	v_mul_f64_e32 v[2:3], v[10:11], v[6:7]
	scratch_store_b128 off, v[4:7], off offset:1100 ; 16-byte Folded Spill
	v_fma_f64 v[18:19], v[8:9], v[4:5], -v[2:3]
	v_mul_f64_e32 v[2:3], v[8:9], v[6:7]
	s_delay_alu instid0(VALU_DEP_1)
	v_fma_f64 v[6:7], v[10:11], v[4:5], v[2:3]
	ds_load_b128 v[8:11], v176 offset:16128
	v_add_f64_e32 v[4:5], v[42:43], v[56:57]
	v_add_f64_e64 v[42:43], v[56:57], -v[42:43]
	v_add_f64_e32 v[56:57], v[16:17], v[34:35]
	v_add_f64_e64 v[16:17], v[26:27], -v[16:17]
	s_wait_dscnt 0x0
	v_mul_f64_e32 v[2:3], v[10:11], v[38:39]
	s_delay_alu instid0(VALU_DEP_4) | instskip(NEXT) | instid1(VALU_DEP_2)
	v_add_f64_e32 v[34:35], v[42:43], v[32:33]
	v_fma_f64 v[30:31], v[8:9], v[36:37], -v[2:3]
	v_mul_f64_e32 v[2:3], v[8:9], v[38:39]
	s_delay_alu instid0(VALU_DEP_1) | instskip(SKIP_3) | instid1(VALU_DEP_1)
	v_fma_f64 v[28:29], v[10:11], v[36:37], v[2:3]
	ds_load_b128 v[8:11], v176 offset:20608
	s_wait_dscnt 0x0
	v_mul_f64_e32 v[2:3], v[10:11], v[50:51]
	v_fma_f64 v[38:39], v[8:9], v[48:49], -v[2:3]
	v_mul_f64_e32 v[2:3], v[8:9], v[50:51]
	s_delay_alu instid0(VALU_DEP_2) | instskip(NEXT) | instid1(VALU_DEP_2)
	v_add_f64_e32 v[236:237], v[30:31], v[38:39]
	v_fma_f64 v[36:37], v[10:11], v[48:49], v[2:3]
	s_clause 0x1
	global_load_b128 v[48:51], v[12:13], off offset:896
	global_load_b128 v[12:15], v[12:13], off offset:912
	ds_load_b128 v[8:11], v176 offset:25088
	v_add_f64_e32 v[242:243], v[28:29], v[36:37]
	v_add_f64_e64 v[28:29], v[36:37], -v[28:29]
	s_wait_loadcnt_dscnt 0x100
	v_mul_f64_e32 v[2:3], v[10:11], v[50:51]
	scratch_store_b128 off, v[48:51], off offset:1148 ; 16-byte Folded Spill
	s_wait_loadcnt 0x0
	scratch_store_b128 off, v[12:15], off offset:1164 ; 16-byte Folded Spill
	v_fma_f64 v[54:55], v[8:9], v[48:49], -v[2:3]
	v_mul_f64_e32 v[2:3], v[8:9], v[50:51]
	s_delay_alu instid0(VALU_DEP_2) | instskip(NEXT) | instid1(VALU_DEP_2)
	v_add_f64_e32 v[244:245], v[18:19], v[54:55]
	v_fma_f64 v[52:53], v[10:11], v[48:49], v[2:3]
	ds_load_b128 v[8:11], v176 offset:29568
	ds_load_b128 v[48:51], v176 offset:17024
	s_wait_dscnt 0x1
	v_mul_f64_e32 v[2:3], v[10:11], v[14:15]
	v_add_f64_e32 v[250:251], v[6:7], v[52:53]
	v_add_f64_e64 v[6:7], v[6:7], -v[52:53]
	s_delay_alu instid0(VALU_DEP_3) | instskip(SKIP_1) | instid1(VALU_DEP_2)
	v_fma_f64 v[62:63], v[8:9], v[12:13], -v[2:3]
	v_mul_f64_e32 v[2:3], v[8:9], v[14:15]
	v_add_f64_e32 v[234:235], v[68:69], v[62:63]
	s_delay_alu instid0(VALU_DEP_2)
	v_fma_f64 v[60:61], v[10:11], v[12:13], v[2:3]
	global_load_b128 v[12:15], v[64:65], off offset:832
	ds_load_b128 v[8:11], v176 offset:8064
	v_add_f64_e32 v[68:69], v[244:245], v[234:235]
	v_add_f64_e32 v[240:241], v[70:71], v[60:61]
	v_add_f64_e64 v[36:37], v[244:245], -v[234:235]
	s_delay_alu instid0(VALU_DEP_3) | instskip(NEXT) | instid1(VALU_DEP_3)
	v_add_f64_e32 v[246:247], v[236:237], v[68:69]
	v_add_f64_e32 v[68:69], v[250:251], v[240:241]
	s_delay_alu instid0(VALU_DEP_1) | instskip(SKIP_2) | instid1(VALU_DEP_1)
	v_add_f64_e32 v[248:249], v[242:243], v[68:69]
	s_wait_loadcnt_dscnt 0x0
	v_mul_f64_e32 v[2:3], v[10:11], v[14:15]
	v_fma_f64 v[170:171], v[8:9], v[12:13], -v[2:3]
	global_load_b128 v[0:3], v[64:65], off offset:848
	v_mul_f64_e32 v[8:9], v[8:9], v[14:15]
	scratch_store_b128 off, v[12:15], off offset:1180 ; 16-byte Folded Spill
	v_fma_f64 v[168:169], v[10:11], v[12:13], v[8:9]
	ds_load_b128 v[12:15], v176 offset:12544
	s_wait_loadcnt 0x0
	scratch_store_b128 off, v[0:3], off offset:1196 ; 16-byte Folded Spill
	s_wait_dscnt 0x0
	v_mul_f64_e32 v[8:9], v[14:15], v[2:3]
	s_delay_alu instid0(VALU_DEP_1) | instskip(SKIP_1) | instid1(VALU_DEP_1)
	v_fma_f64 v[10:11], v[12:13], v[0:1], -v[8:9]
	v_mul_f64_e32 v[8:9], v[12:13], v[2:3]
	v_fma_f64 v[172:173], v[14:15], v[0:1], v[8:9]
	global_load_b128 v[0:3], v[64:65], off offset:864
	scratch_store_b64 off, v[70:71], off offset:1340 ; 8-byte Folded Spill
	ds_load_b128 v[68:71], v176 offset:2688
	s_wait_dscnt 0x0
	v_add_f64_e32 v[70:71], v[70:71], v[248:249]
	v_add_f64_e32 v[68:69], v[68:69], v[246:247]
	s_wait_loadcnt 0x0
	scratch_store_b128 off, v[0:3], off offset:1212 ; 16-byte Folded Spill
	v_mul_f64_e32 v[12:13], v[50:51], v[2:3]
	s_delay_alu instid0(VALU_DEP_1) | instskip(SKIP_1) | instid1(VALU_DEP_1)
	v_fma_f64 v[14:15], v[48:49], v[0:1], -v[12:13]
	v_mul_f64_e32 v[12:13], v[48:49], v[2:3]
	v_fma_f64 v[8:9], v[50:51], v[0:1], v[12:13]
	global_load_b128 v[0:3], v[64:65], off offset:880
	ds_load_b128 v[48:51], v176 offset:21504
	s_wait_loadcnt_dscnt 0x0
	v_mul_f64_e32 v[20:21], v[50:51], v[2:3]
	scratch_store_b128 off, v[0:3], off offset:1228 ; 16-byte Folded Spill
	v_fma_f64 v[24:25], v[48:49], v[0:1], -v[20:21]
	v_mul_f64_e32 v[20:21], v[48:49], v[2:3]
	s_delay_alu instid0(VALU_DEP_2) | instskip(NEXT) | instid1(VALU_DEP_2)
	v_add_f64_e32 v[224:225], v[14:15], v[24:25]
	v_fma_f64 v[20:21], v[50:51], v[0:1], v[20:21]
	global_load_b128 v[0:3], v[64:65], off offset:896
	ds_load_b128 v[48:51], v176 offset:25984
	v_add_f64_e64 v[14:15], v[24:25], -v[14:15]
	v_add_f64_e32 v[222:223], v[8:9], v[20:21]
	v_add_f64_e64 v[20:21], v[20:21], -v[8:9]
	s_wait_loadcnt_dscnt 0x0
	v_mul_f64_e32 v[40:41], v[50:51], v[2:3]
	scratch_store_b128 off, v[0:3], off offset:1244 ; 16-byte Folded Spill
	v_fma_f64 v[44:45], v[48:49], v[0:1], -v[40:41]
	v_mul_f64_e32 v[40:41], v[48:49], v[2:3]
	s_delay_alu instid0(VALU_DEP_1)
	v_fma_f64 v[40:41], v[50:51], v[0:1], v[40:41]
	global_load_b128 v[0:3], v[64:65], off offset:912
	ds_load_b128 v[64:67], v176 offset:30464
	v_add_f64_e32 v[220:221], v[172:173], v[40:41]
	v_add_f64_e64 v[24:25], v[172:173], -v[40:41]
	s_wait_loadcnt_dscnt 0x0
	v_mul_f64_e32 v[48:49], v[66:67], v[2:3]
	scratch_store_b128 off, v[0:3], off offset:1260 ; 16-byte Folded Spill
	v_fma_f64 v[50:51], v[64:65], v[0:1], -v[48:49]
	v_mul_f64_e32 v[48:49], v[64:65], v[2:3]
	v_add_f64_e32 v[64:65], v[192:193], v[180:181]
	s_delay_alu instid0(VALU_DEP_3) | instskip(NEXT) | instid1(VALU_DEP_3)
	v_add_f64_e32 v[12:13], v[170:171], v[50:51]
	v_fma_f64 v[48:49], v[66:67], v[0:1], v[48:49]
	s_delay_alu instid0(VALU_DEP_3) | instskip(SKIP_4) | instid1(VALU_DEP_4)
	v_add_f64_e32 v[202:203], v[182:183], v[64:65]
	v_add_f64_e32 v[64:65], v[194:195], v[188:189]
	;; [unrolled: 1-line block ×3, first 2 shown]
	v_add_f64_e64 v[10:11], v[10:11], -v[44:45]
	v_add_f64_e32 v[160:161], v[168:169], v[48:49]
	v_add_f64_e32 v[204:205], v[190:191], v[64:65]
	ds_load_b128 v[64:67], v176
	v_add_f64_e64 v[8:9], v[14:15], -v[10:11]
	v_add_f64_e64 v[40:41], v[0:1], -v[12:13]
	s_wait_dscnt 0x0
	v_add_f64_e32 v[72:73], v[64:65], v[202:203]
	v_add_f64_e32 v[64:65], v[212:213], v[200:201]
	v_add_f64_e64 v[44:45], v[220:221], -v[160:161]
	v_add_f64_e32 v[74:75], v[66:67], v[204:205]
	s_delay_alu instid0(VALU_DEP_4) | instskip(NEXT) | instid1(VALU_DEP_4)
	v_fma_f64 v[202:203], v[202:203], s[8:9], v[72:73]
	v_add_f64_e32 v[252:253], v[206:207], v[64:65]
	v_add_f64_e32 v[64:65], v[218:219], v[208:209]
	s_delay_alu instid0(VALU_DEP_4) | instskip(NEXT) | instid1(VALU_DEP_2)
	v_fma_f64 v[204:205], v[204:205], s[8:9], v[74:75]
	v_add_f64_e32 v[254:255], v[210:211], v[64:65]
	ds_load_b128 v[64:67], v176 offset:896
	s_wait_dscnt 0x0
	v_add_f64_e32 v[76:77], v[64:65], v[252:253]
	v_add_f64_e32 v[64:65], v[228:229], v[214:215]
	;; [unrolled: 1-line block ×3, first 2 shown]
	s_delay_alu instid0(VALU_DEP_3) | instskip(NEXT) | instid1(VALU_DEP_3)
	v_fma_f64 v[252:253], v[252:253], s[8:9], v[76:77]
	v_add_f64_e32 v[230:231], v[216:217], v[64:65]
	v_add_f64_e32 v[64:65], v[238:239], v[162:163]
	s_delay_alu instid0(VALU_DEP_4) | instskip(NEXT) | instid1(VALU_DEP_2)
	v_fma_f64 v[254:255], v[254:255], s[8:9], v[78:79]
	v_add_f64_e32 v[232:233], v[4:5], v[64:65]
	ds_load_b128 v[64:67], v176 offset:1792
	global_wb scope:SCOPE_SE
	s_wait_storecnt_dscnt 0x0
	s_barrier_signal -1
	s_barrier_wait -1
	global_inv scope:SCOPE_SE
	ds_store_b128 v176, v[72:75]
	ds_store_b128 v176, v[76:79] offset:6272
	v_add_f64_e32 v[72:73], v[0:1], v[12:13]
	v_add_f64_e64 v[76:77], v[122:123], -v[158:159]
	v_add_f64_e64 v[122:123], v[154:155], -v[126:127]
	;; [unrolled: 1-line block ×8, first 2 shown]
	v_add_f64_e32 v[64:65], v[64:65], v[230:231]
	v_add_f64_e32 v[66:67], v[66:67], v[232:233]
	;; [unrolled: 1-line block ×4, first 2 shown]
	v_add_f64_e64 v[154:155], v[76:77], -v[118:119]
	v_add_f64_e64 v[158:159], v[78:79], -v[46:47]
	;; [unrolled: 1-line block ×3, first 2 shown]
	s_delay_alu instid0(VALU_DEP_4) | instskip(SKIP_2) | instid1(VALU_DEP_4)
	v_add_f64_e32 v[2:3], v[222:223], v[72:73]
	v_add_f64_e32 v[72:73], v[80:81], v[226:227]
	v_add_f64_e32 v[80:81], v[122:123], v[76:77]
	v_mul_f64_e32 v[156:157], s[22:23], v[156:157]
	s_delay_alu instid0(VALU_DEP_4) | instskip(SKIP_4) | instid1(VALU_DEP_4)
	v_add_f64_e32 v[74:75], v[82:83], v[2:3]
	v_add_f64_e64 v[82:83], v[122:123], -v[76:77]
	v_add_f64_e32 v[76:77], v[120:121], v[78:79]
	v_add_f64_e32 v[178:179], v[80:81], v[118:119]
	v_mul_f64_e32 v[78:79], s[14:15], v[152:153]
	v_mul_f64_e32 v[194:195], s[22:23], v[82:83]
	s_delay_alu instid0(VALU_DEP_4) | instskip(SKIP_1) | instid1(VALU_DEP_4)
	v_add_f64_e32 v[192:193], v[76:77], v[46:47]
	v_mul_f64_e32 v[76:77], s[14:15], v[124:125]
	v_fma_f64 v[78:79], v[126:127], s[20:21], -v[78:79]
	v_add_f64_e64 v[46:47], v[46:47], -v[120:121]
	v_mul_f64_e32 v[120:121], s[18:19], v[158:159]
	v_fma_f64 v[80:81], v[154:155], s[18:19], -v[194:195]
	v_fma_f64 v[76:77], v[116:117], s[20:21], -v[76:77]
	v_add_f64_e32 v[166:167], v[78:79], v[204:205]
	s_delay_alu instid0(VALU_DEP_4)
	v_fma_f64 v[120:121], v[46:47], s[30:31], -v[120:121]
	v_fma_f64 v[46:47], v[46:47], s[24:25], v[156:157]
	v_fma_f64 v[82:83], v[178:179], s[16:17], v[80:81]
	v_fma_f64 v[80:81], v[158:159], s[18:19], -v[156:157]
	v_add_f64_e32 v[164:165], v[76:77], v[202:203]
	v_fma_f64 v[120:121], v[192:193], s[16:17], v[120:121]
	v_fma_f64 v[46:47], v[192:193], s[16:17], v[46:47]
	v_add_f64_e32 v[78:79], v[82:83], v[166:167]
	v_fma_f64 v[80:81], v[192:193], s[16:17], v[80:81]
	v_add_f64_e64 v[82:83], v[166:167], -v[82:83]
	v_add_f64_e64 v[166:167], v[188:189], -v[190:191]
	;; [unrolled: 1-line block ×3, first 2 shown]
	s_delay_alu instid0(VALU_DEP_4)
	v_add_f64_e64 v[76:77], v[164:165], -v[80:81]
	v_add_f64_e32 v[80:81], v[80:81], v[164:165]
	v_add_f64_e64 v[164:165], v[180:181], -v[182:183]
	v_add_f64_e64 v[180:181], v[118:119], -v[122:123]
	v_mul_f64_e32 v[118:119], s[18:19], v[154:155]
	v_mul_f64_e32 v[158:159], s[26:27], v[166:167]
	v_add_f64_e32 v[166:167], v[100:101], v[88:89]
	v_mul_f64_e32 v[154:155], s[26:27], v[164:165]
	s_delay_alu instid0(VALU_DEP_4) | instskip(SKIP_1) | instid1(VALU_DEP_4)
	v_fma_f64 v[118:119], v[180:181], s[30:31], -v[118:119]
	s_wait_alu 0xfffe
	v_fma_f64 v[122:123], v[126:127], s[28:29], -v[158:159]
	v_fma_f64 v[152:153], v[152:153], s[14:15], v[158:159]
	s_delay_alu instid0(VALU_DEP_4)
	v_fma_f64 v[124:125], v[124:125], s[14:15], v[154:155]
	v_fma_f64 v[116:117], v[116:117], s[28:29], -v[154:155]
	v_fma_f64 v[126:127], v[178:179], s[16:17], v[118:119]
	v_add_f64_e32 v[122:123], v[122:123], v[204:205]
	v_add_f64_e32 v[158:159], v[152:153], v[204:205]
	;; [unrolled: 1-line block ×4, first 2 shown]
	s_delay_alu instid0(VALU_DEP_4)
	v_add_f64_e64 v[118:119], v[122:123], -v[126:127]
	v_add_f64_e32 v[122:123], v[126:127], v[122:123]
	v_fma_f64 v[126:127], v[180:181], s[24:25], v[194:195]
	v_add_f64_e32 v[124:125], v[46:47], v[156:157]
	v_add_f64_e64 v[152:153], v[156:157], -v[46:47]
	v_add_f64_e64 v[46:47], v[98:99], -v[110:111]
	;; [unrolled: 1-line block ×4, first 2 shown]
	v_fma_f64 v[154:155], v[178:179], s[16:17], v[126:127]
	v_add_f64_e32 v[116:117], v[120:121], v[164:165]
	v_add_f64_e64 v[120:121], v[164:165], -v[120:121]
	v_add_f64_e64 v[98:99], v[102:103], -v[46:47]
	v_add_f64_e32 v[96:97], v[102:103], v[46:47]
	v_add_f64_e64 v[46:47], v[46:47], -v[106:107]
	v_add_f64_e64 v[126:127], v[158:159], -v[154:155]
	v_add_f64_e32 v[154:155], v[154:155], v[158:159]
	v_add_f64_e64 v[158:159], v[94:95], -v[88:89]
	v_mul_f64_e32 v[156:157], s[22:23], v[156:157]
	v_mul_f64_e32 v[94:95], s[14:15], v[110:111]
	v_add_f64_e64 v[88:89], v[88:89], -v[104:105]
	v_mul_f64_e32 v[178:179], s[22:23], v[98:99]
	v_add_f64_e32 v[164:165], v[96:97], v[106:107]
	v_mul_f64_e32 v[96:97], s[14:15], v[114:115]
	v_mul_f64_e32 v[102:103], s[18:19], v[158:159]
	v_fma_f64 v[94:95], v[108:109], s[20:21], -v[94:95]
	v_fma_f64 v[98:99], v[46:47], s[18:19], -v[178:179]
	v_mul_f64_e32 v[46:47], s[18:19], v[46:47]
	v_fma_f64 v[96:97], v[112:113], s[20:21], -v[96:97]
	v_fma_f64 v[102:103], v[88:89], s[30:31], -v[102:103]
	v_fma_f64 v[88:89], v[88:89], s[24:25], v[156:157]
	v_add_f64_e32 v[180:181], v[94:95], v[252:253]
	v_fma_f64 v[100:101], v[164:165], s[16:17], v[98:99]
	v_fma_f64 v[98:99], v[158:159], s[18:19], -v[156:157]
	v_add_f64_e32 v[182:183], v[96:97], v[254:255]
	v_fma_f64 v[46:47], v[188:189], s[30:31], -v[46:47]
	v_fma_f64 v[88:89], v[166:167], s[16:17], v[88:89]
	s_delay_alu instid0(VALU_DEP_4) | instskip(NEXT) | instid1(VALU_DEP_4)
	v_fma_f64 v[98:99], v[166:167], s[16:17], v[98:99]
	v_add_f64_e32 v[96:97], v[100:101], v[182:183]
	v_add_f64_e64 v[100:101], v[182:183], -v[100:101]
	v_add_f64_e64 v[182:183], v[208:209], -v[210:211]
	v_fma_f64 v[46:47], v[164:165], s[16:17], v[46:47]
	v_add_f64_e64 v[94:95], v[180:181], -v[98:99]
	v_add_f64_e32 v[98:99], v[98:99], v[180:181]
	v_add_f64_e64 v[180:181], v[200:201], -v[206:207]
	s_delay_alu instid0(VALU_DEP_1) | instskip(SKIP_1) | instid1(VALU_DEP_2)
	v_mul_f64_e32 v[158:159], s[26:27], v[180:181]
	v_mul_f64_e32 v[180:181], s[26:27], v[182:183]
	v_fma_f64 v[104:105], v[108:109], s[28:29], -v[158:159]
	s_delay_alu instid0(VALU_DEP_2)
	v_fma_f64 v[106:107], v[112:113], s[28:29], -v[180:181]
	v_fma_f64 v[108:109], v[166:167], s[16:17], v[102:103]
	v_fma_f64 v[110:111], v[110:111], s[14:15], v[158:159]
	v_add_f64_e32 v[166:167], v[34:35], v[22:23]
	v_add_f64_e64 v[22:23], v[22:23], -v[42:43]
	v_add_f64_e32 v[112:113], v[104:105], v[252:253]
	v_add_f64_e32 v[182:183], v[106:107], v[254:255]
	s_delay_alu instid0(VALU_DEP_2) | instskip(NEXT) | instid1(VALU_DEP_2)
	v_add_f64_e32 v[102:103], v[108:109], v[112:113]
	v_add_f64_e64 v[104:105], v[182:183], -v[46:47]
	v_add_f64_e64 v[106:107], v[112:113], -v[108:109]
	v_add_f64_e32 v[108:109], v[46:47], v[182:183]
	v_fma_f64 v[46:47], v[188:189], s[24:25], v[178:179]
	v_fma_f64 v[112:113], v[114:115], s[14:15], v[180:181]
	v_add_f64_e32 v[114:115], v[110:111], v[252:253]
	v_mul_f64_e32 v[178:179], s[22:23], v[58:59]
	v_fma_f64 v[182:183], v[230:231], s[8:9], v[64:65]
	v_fma_f64 v[188:189], v[232:233], s[8:9], v[66:67]
	;; [unrolled: 1-line block ×3, first 2 shown]
	v_add_f64_e32 v[158:159], v[112:113], v[254:255]
	v_add_f64_e32 v[110:111], v[88:89], v[114:115]
	v_add_f64_e64 v[156:157], v[114:115], -v[88:89]
	v_add_f64_e64 v[88:89], v[42:43], -v[32:33]
	v_add_f64_e32 v[164:165], v[56:57], v[26:27]
	v_mul_f64_e32 v[32:33], s[14:15], v[92:93]
	v_fma_f64 v[56:57], v[86:87], s[18:19], -v[178:179]
	v_add_f64_e64 v[114:115], v[4:5], -v[238:239]
	v_add_f64_e64 v[4:5], v[162:163], -v[4:5]
	v_mul_f64_e32 v[26:27], s[18:19], v[86:87]
	v_mul_f64_e32 v[42:43], s[18:19], v[90:91]
	v_add_f64_e64 v[112:113], v[158:159], -v[46:47]
	v_add_f64_e32 v[158:159], v[46:47], v[158:159]
	v_add_f64_e64 v[46:47], v[228:229], -v[214:215]
	v_mul_f64_e32 v[180:181], s[22:23], v[88:89]
	v_fma_f64 v[58:59], v[164:165], s[16:17], v[56:57]
	v_mul_f64_e32 v[34:35], s[14:15], v[114:115]
	v_mul_f64_e32 v[4:5], s[26:27], v[4:5]
	v_fma_f64 v[26:27], v[16:17], s[30:31], -v[26:27]
	v_fma_f64 v[16:17], v[16:17], s[24:25], v[178:179]
	v_fma_f64 v[42:43], v[22:23], s[30:31], -v[42:43]
	v_fma_f64 v[32:33], v[46:47], s[20:21], -v[32:33]
	;; [unrolled: 1-line block ×3, first 2 shown]
	v_fma_f64 v[22:23], v[22:23], s[24:25], v[180:181]
	v_fma_f64 v[34:35], v[84:85], s[20:21], -v[34:35]
	v_fma_f64 v[84:85], v[84:85], s[28:29], -v[4:5]
	v_fma_f64 v[26:27], v[164:165], s[16:17], v[26:27]
	v_fma_f64 v[4:5], v[114:115], s[14:15], v[4:5]
	v_fma_f64 v[16:17], v[164:165], s[16:17], v[16:17]
	v_fma_f64 v[42:43], v[166:167], s[16:17], v[42:43]
	v_fma_f64 v[164:165], v[248:249], s[8:9], v[70:71]
	v_add_f64_e32 v[88:89], v[32:33], v[182:183]
	v_fma_f64 v[56:57], v[166:167], s[16:17], v[56:57]
	v_fma_f64 v[22:23], v[166:167], s[16:17], v[22:23]
	v_add_f64_e32 v[190:191], v[34:35], v[188:189]
	v_add_f64_e32 v[90:91], v[84:85], v[188:189]
	v_add_f64_e32 v[4:5], v[4:5], v[188:189]
	v_add_f64_e64 v[32:33], v[88:89], -v[56:57]
	v_add_f64_e32 v[56:57], v[56:57], v[88:89]
	v_add_f64_e64 v[88:89], v[214:215], -v[216:217]
	v_add_f64_e32 v[34:35], v[58:59], v[190:191]
	;; [unrolled: 2-line block ×4, first 2 shown]
	v_mul_f64_e32 v[162:163], s[26:27], v[88:89]
	s_delay_alu instid0(VALU_DEP_1) | instskip(SKIP_2) | instid1(VALU_DEP_3)
	v_fma_f64 v[46:47], v[46:47], s[28:29], -v[162:163]
	v_fma_f64 v[26:27], v[92:93], s[14:15], v[162:163]
	v_fma_f64 v[162:163], v[246:247], s[8:9], v[68:69]
	v_add_f64_e32 v[46:47], v[46:47], v[182:183]
	s_delay_alu instid0(VALU_DEP_3)
	v_add_f64_e32 v[26:27], v[26:27], v[182:183]
	v_add_f64_e64 v[182:183], v[4:5], -v[16:17]
	scratch_load_b64 v[16:17], off, off offset:1340 th:TH_LOAD_LU ; 8-byte Folded Reload
	v_add_f64_e64 v[4:5], v[18:19], -v[54:55]
	v_add_f64_e64 v[54:55], v[28:29], -v[6:7]
	ds_store_b128 v176, v[124:127] offset:896
	ds_store_b128 v176, v[116:119] offset:1792
	;; [unrolled: 1-line block ×12, first 2 shown]
	v_mul_f64_e32 v[80:81], s[22:23], v[8:9]
	v_fma_f64 v[82:83], v[226:227], s[8:9], v[72:73]
	v_add_f64_e32 v[84:85], v[42:43], v[46:47]
	v_add_f64_e32 v[180:181], v[22:23], v[26:27]
	v_add_f64_e64 v[188:189], v[26:27], -v[22:23]
	v_add_f64_e64 v[22:23], v[38:39], -v[30:31]
	;; [unrolled: 1-line block ×7, first 2 shown]
	v_mul_f64_e32 v[54:55], s[22:23], v[54:55]
	v_add_f64_e64 v[18:19], v[22:23], -v[4:5]
	v_add_f64_e64 v[52:53], v[4:5], -v[26:27]
	s_delay_alu instid0(VALU_DEP_2)
	v_mul_f64_e32 v[114:115], s[22:23], v[18:19]
	s_wait_loadcnt 0x0
	v_add_f64_e64 v[30:31], v[16:17], -v[60:61]
	v_add_f64_e32 v[16:17], v[22:23], v[4:5]
	v_add_f64_e32 v[4:5], v[28:29], v[6:7]
	v_add_f64_e64 v[22:23], v[26:27], -v[22:23]
	s_delay_alu instid0(VALU_DEP_4)
	v_add_f64_e64 v[60:61], v[6:7], -v[30:31]
	v_mul_f64_e32 v[6:7], s[14:15], v[46:47]
	v_add_f64_e32 v[62:63], v[16:17], v[26:27]
	v_add_f64_e32 v[92:93], v[4:5], v[30:31]
	v_mul_f64_e32 v[4:5], s[14:15], v[42:43]
	v_fma_f64 v[16:17], v[52:53], s[18:19], -v[114:115]
	v_add_f64_e64 v[30:31], v[30:31], -v[28:29]
	v_mul_f64_e32 v[26:27], s[18:19], v[52:53]
	v_mul_f64_e32 v[28:29], s[18:19], v[60:61]
	v_fma_f64 v[6:7], v[38:39], s[20:21], -v[6:7]
	v_fma_f64 v[4:5], v[36:37], s[20:21], -v[4:5]
	v_fma_f64 v[18:19], v[62:63], s[16:17], v[16:17]
	v_fma_f64 v[16:17], v[60:61], s[18:19], -v[54:55]
	v_fma_f64 v[26:27], v[22:23], s[30:31], -v[26:27]
	v_fma_f64 v[22:23], v[22:23], s[24:25], v[114:115]
	v_fma_f64 v[28:29], v[30:31], s[30:31], -v[28:29]
	v_add_f64_e32 v[178:179], v[6:7], v[164:165]
	v_fma_f64 v[30:31], v[30:31], s[24:25], v[54:55]
	v_add_f64_e32 v[166:167], v[4:5], v[162:163]
	v_fma_f64 v[16:17], v[92:93], s[16:17], v[16:17]
	v_fma_f64 v[22:23], v[62:63], s[16:17], v[22:23]
	v_add_f64_e32 v[6:7], v[18:19], v[178:179]
	v_add_f64_e64 v[18:19], v[178:179], -v[18:19]
	v_add_f64_e64 v[178:179], v[240:241], -v[242:243]
	v_fma_f64 v[30:31], v[92:93], s[16:17], v[30:31]
	v_add_f64_e64 v[4:5], v[166:167], -v[16:17]
	v_add_f64_e32 v[16:17], v[16:17], v[166:167]
	v_add_f64_e64 v[166:167], v[234:235], -v[236:237]
	v_mul_f64_e32 v[60:61], s[26:27], v[178:179]
	v_fma_f64 v[178:179], v[92:93], s[16:17], v[28:29]
	v_fma_f64 v[92:93], v[2:3], s[8:9], v[74:75]
	s_mov_b32 s9, 0xbfe2cf23
	s_delay_alu instid0(VALU_DEP_4) | instskip(SKIP_3) | instid1(VALU_DEP_4)
	v_mul_f64_e32 v[52:53], s[26:27], v[166:167]
	v_fma_f64 v[166:167], v[62:63], s[16:17], v[26:27]
	v_fma_f64 v[46:47], v[46:47], s[14:15], v[60:61]
	v_fma_f64 v[38:39], v[38:39], s[28:29], -v[60:61]
	v_fma_f64 v[42:43], v[42:43], s[14:15], v[52:53]
	v_fma_f64 v[36:37], v[36:37], s[28:29], -v[52:53]
	s_delay_alu instid0(VALU_DEP_4) | instskip(NEXT) | instid1(VALU_DEP_4)
	v_add_f64_e32 v[46:47], v[46:47], v[164:165]
	v_add_f64_e32 v[38:39], v[38:39], v[164:165]
	s_delay_alu instid0(VALU_DEP_4) | instskip(NEXT) | instid1(VALU_DEP_4)
	v_add_f64_e32 v[42:43], v[42:43], v[162:163]
	v_add_f64_e32 v[36:37], v[36:37], v[162:163]
	s_delay_alu instid0(VALU_DEP_4)
	v_add_f64_e64 v[54:55], v[46:47], -v[22:23]
	v_add_f64_e32 v[62:63], v[22:23], v[46:47]
	v_add_f64_e64 v[22:23], v[170:171], -v[50:51]
	v_add_f64_e64 v[50:51], v[20:21], -v[24:25]
	;; [unrolled: 1-line block ×3, first 2 shown]
	v_add_f64_e32 v[52:53], v[30:31], v[42:43]
	v_add_f64_e64 v[60:61], v[42:43], -v[30:31]
	v_add_f64_e64 v[30:31], v[168:169], -v[48:49]
	;; [unrolled: 1-line block ×3, first 2 shown]
	v_add_f64_e32 v[0:1], v[14:15], v[10:11]
	v_add_f64_e32 v[26:27], v[178:179], v[36:37]
	v_add_f64_e64 v[28:29], v[38:39], -v[166:167]
	v_add_f64_e64 v[36:37], v[36:37], -v[178:179]
	v_add_f64_e32 v[38:39], v[166:167], v[38:39]
	v_add_f64_e64 v[48:49], v[10:11], -v[22:23]
	v_add_f64_e32 v[10:11], v[20:21], v[24:25]
	v_mul_f64_e32 v[50:51], s[22:23], v[50:51]
	v_mul_f64_e32 v[8:9], s[14:15], v[46:47]
	v_add_f64_e64 v[24:25], v[24:25], -v[30:31]
	v_add_f64_e32 v[76:77], v[0:1], v[22:23]
	v_mul_f64_e32 v[0:1], s[14:15], v[42:43]
	v_fma_f64 v[2:3], v[48:49], s[18:19], -v[80:81]
	v_add_f64_e32 v[78:79], v[10:11], v[30:31]
	v_add_f64_e64 v[30:31], v[30:31], -v[20:21]
	v_fma_f64 v[8:9], v[44:45], s[20:21], -v[8:9]
	v_mul_f64_e32 v[20:21], s[18:19], v[24:25]
	v_fma_f64 v[0:1], v[40:41], s[20:21], -v[0:1]
	v_fma_f64 v[10:11], v[76:77], s[16:17], v[2:3]
	v_fma_f64 v[2:3], v[24:25], s[18:19], -v[50:51]
	v_mul_f64_e32 v[24:25], s[26:27], v[12:13]
	v_add_f64_e32 v[98:99], v[8:9], v[92:93]
	v_add_f64_e32 v[96:97], v[0:1], v[82:83]
	s_delay_alu instid0(VALU_DEP_4) | instskip(NEXT) | instid1(VALU_DEP_3)
	v_fma_f64 v[94:95], v[78:79], s[16:17], v[2:3]
	v_add_f64_e32 v[2:3], v[10:11], v[98:99]
	v_add_f64_e64 v[10:11], v[98:99], -v[10:11]
	s_delay_alu instid0(VALU_DEP_3)
	v_add_f64_e64 v[0:1], v[96:97], -v[94:95]
	v_add_f64_e32 v[8:9], v[94:95], v[96:97]
	v_add_f64_e64 v[94:95], v[160:161], -v[222:223]
	v_add_f64_e64 v[96:97], v[22:23], -v[14:15]
	v_mul_f64_e32 v[14:15], s[18:19], v[48:49]
	s_mov_b32 s18, 0x372fe950
	s_mov_b32 s19, 0x3fd3c6ef
	s_delay_alu instid0(VALU_DEP_3) | instskip(NEXT) | instid1(VALU_DEP_2)
	v_mul_f64_e32 v[48:49], s[26:27], v[94:95]
	v_fma_f64 v[12:13], v[96:97], s[30:31], -v[14:15]
	v_fma_f64 v[14:15], v[30:31], s[30:31], -v[20:21]
	;; [unrolled: 1-line block ×3, first 2 shown]
	v_fma_f64 v[30:31], v[30:31], s[24:25], v[50:51]
	v_fma_f64 v[24:25], v[42:43], s[14:15], v[24:25]
	v_fma_f64 v[22:23], v[44:45], s[28:29], -v[48:49]
	v_fma_f64 v[42:43], v[46:47], s[14:15], v[48:49]
	v_fma_f64 v[40:41], v[76:77], s[16:17], v[12:13]
	;; [unrolled: 1-line block ×3, first 2 shown]
	v_add_f64_e32 v[20:21], v[20:21], v[82:83]
	v_fma_f64 v[30:31], v[78:79], s[16:17], v[30:31]
	v_add_f64_e32 v[24:25], v[24:25], v[82:83]
	s_mov_b32 s14, 0x134454ff
	s_mov_b32 s15, 0x3fee6f0e
	v_add_f64_e32 v[22:23], v[22:23], v[92:93]
	v_add_f64_e32 v[48:49], v[42:43], v[92:93]
	;; [unrolled: 1-line block ×3, first 2 shown]
	v_add_f64_e64 v[20:21], v[20:21], -v[44:45]
	v_add_f64_e64 v[44:45], v[24:25], -v[30:31]
	v_add_f64_e64 v[14:15], v[22:23], -v[40:41]
	v_add_f64_e32 v[22:23], v[40:41], v[22:23]
	v_fma_f64 v[40:41], v[96:97], s[24:25], v[80:81]
	s_delay_alu instid0(VALU_DEP_1)
	v_fma_f64 v[46:47], v[76:77], s[16:17], v[40:41]
	v_add_f64_e32 v[40:41], v[30:31], v[24:25]
	scratch_load_b32 v24, off, off offset:1292 th:TH_LOAD_LU ; 4-byte Folded Reload
	s_mov_b32 s17, 0xbfee6f0e
	s_wait_alu 0xfffe
	s_mov_b32 s16, s14
	v_add_f64_e64 v[42:43], v[48:49], -v[46:47]
	v_add_f64_e32 v[46:47], v[46:47], v[48:49]
	s_wait_loadcnt 0x0
	v_lshlrev_b32_e32 v30, 4, v24
	scratch_load_b32 v24, off, off offset:1308 th:TH_LOAD_LU ; 4-byte Folded Reload
	s_wait_loadcnt 0x0
	v_lshlrev_b32_e32 v25, 4, v24
	v_and_b32_e32 v24, 0xffff, v177
	ds_store_b128 v30, v[64:67] offset:12544
	ds_store_b128 v25, v[68:71] offset:18816
	v_lshlrev_b32_e32 v127, 4, v24
	ds_store_b128 v127, v[72:75] offset:25088
	ds_store_b128 v30, v[180:183] offset:13440
	;; [unrolled: 1-line block ×6, first 2 shown]
	scratch_store_b32 off, v30, off offset:1692 ; 4-byte Folded Spill
	ds_store_b128 v30, v[188:191] offset:17920
	ds_store_b128 v25, v[52:55] offset:19712
	;; [unrolled: 1-line block ×13, first 2 shown]
	scratch_load_b32 v0, off, off offset:1276 th:TH_LOAD_LU ; 4-byte Folded Reload
	global_wb scope:SCOPE_SE
	s_wait_storecnt 0x0
	s_wait_loadcnt_dscnt 0x0
	s_barrier_signal -1
	s_barrier_wait -1
	global_inv scope:SCOPE_SE
	v_mov_b32_e32 v183, v25
	scratch_load_b32 v72, off, off offset:24 ; 4-byte Folded Reload
	ds_load_b128 v[232:235], v176 offset:2688
	v_lshlrev_b32_e32 v10, 4, v0
	ds_load_b128 v[0:3], v176 offset:6272
	s_clause 0x1
	global_load_b128 v[220:223], v10, s[2:3] offset:6208
	global_load_b128 v[11:14], v10, s[2:3] offset:6224
	s_wait_loadcnt 0x2
	s_clause 0x1
	global_load_b128 v[112:115], v72, s[2:3] offset:6224
	global_load_b128 v[160:163], v72, s[2:3] offset:6256
	s_wait_loadcnt_dscnt 0x300
	v_mul_f64_e32 v[4:5], v[2:3], v[222:223]
	s_wait_loadcnt 0x2
	scratch_store_b128 off, v[11:14], off offset:1276 ; 16-byte Folded Spill
	s_wait_loadcnt 0x1
	scratch_store_b128 off, v[112:115], off offset:1660 ; 16-byte Folded Spill
	v_fma_f64 v[4:5], v[0:1], v[220:221], -v[4:5]
	v_mul_f64_e32 v[0:1], v[0:1], v[222:223]
	s_delay_alu instid0(VALU_DEP_1) | instskip(SKIP_3) | instid1(VALU_DEP_1)
	v_fma_f64 v[6:7], v[2:3], v[220:221], v[0:1]
	ds_load_b128 v[0:3], v176 offset:12544
	s_wait_dscnt 0x0
	v_mul_f64_e32 v[8:9], v[2:3], v[13:14]
	v_fma_f64 v[16:17], v[0:1], v[11:12], -v[8:9]
	v_mul_f64_e32 v[0:1], v[0:1], v[13:14]
	s_delay_alu instid0(VALU_DEP_1)
	v_fma_f64 v[18:19], v[2:3], v[11:12], v[0:1]
	global_load_b128 v[11:14], v10, s[2:3] offset:6240
	ds_load_b128 v[0:3], v176 offset:18816
	s_wait_loadcnt_dscnt 0x0
	v_mul_f64_e32 v[8:9], v[2:3], v[13:14]
	scratch_store_b128 off, v[11:14], off offset:1292 ; 16-byte Folded Spill
	v_fma_f64 v[24:25], v[0:1], v[11:12], -v[8:9]
	v_mul_f64_e32 v[0:1], v[0:1], v[13:14]
	s_delay_alu instid0(VALU_DEP_2) | instskip(NEXT) | instid1(VALU_DEP_2)
	v_add_f64_e32 v[116:117], v[16:17], v[24:25]
	v_fma_f64 v[26:27], v[2:3], v[11:12], v[0:1]
	global_load_b128 v[10:13], v10, s[2:3] offset:6256
	ds_load_b128 v[0:3], v176 offset:25088
	v_add_f64_e64 v[154:155], v[16:17], -v[24:25]
	v_add_f64_e32 v[118:119], v[18:19], v[26:27]
	v_add_f64_e64 v[122:123], v[18:19], -v[26:27]
	s_wait_loadcnt_dscnt 0x0
	v_mul_f64_e32 v[8:9], v[2:3], v[12:13]
	scratch_store_b128 off, v[10:13], off offset:1308 ; 16-byte Folded Spill
	v_fma_f64 v[36:37], v[0:1], v[10:11], -v[8:9]
	v_mul_f64_e32 v[0:1], v[0:1], v[12:13]
	s_delay_alu instid0(VALU_DEP_2) | instskip(NEXT) | instid1(VALU_DEP_2)
	v_add_f64_e64 v[152:153], v[4:5], -v[36:37]
	v_fma_f64 v[38:39], v[2:3], v[10:11], v[0:1]
	scratch_load_b32 v0, off, off offset:1324 th:TH_LOAD_LU ; 4-byte Folded Reload
	v_add_f64_e64 v[120:121], v[6:7], -v[38:39]
	s_wait_loadcnt 0x0
	v_lshlrev_b32_e32 v28, 4, v0
	ds_load_b128 v[0:3], v176 offset:7168
	s_clause 0x1
	global_load_b128 v[12:15], v28, s[2:3] offset:6208
	global_load_b128 v[29:32], v28, s[2:3] offset:6224
	s_wait_loadcnt_dscnt 0x100
	v_mul_f64_e32 v[8:9], v[2:3], v[14:15]
	scratch_store_b128 off, v[12:15], off offset:1324 ; 16-byte Folded Spill
	s_wait_loadcnt 0x0
	scratch_store_b128 off, v[29:32], off offset:1340 ; 16-byte Folded Spill
	v_fma_f64 v[10:11], v[0:1], v[12:13], -v[8:9]
	v_mul_f64_e32 v[0:1], v[0:1], v[14:15]
	s_delay_alu instid0(VALU_DEP_1) | instskip(SKIP_3) | instid1(VALU_DEP_1)
	v_fma_f64 v[8:9], v[2:3], v[12:13], v[0:1]
	ds_load_b128 v[0:3], v176 offset:13440
	s_wait_dscnt 0x0
	v_mul_f64_e32 v[12:13], v[2:3], v[31:32]
	v_fma_f64 v[20:21], v[0:1], v[29:30], -v[12:13]
	v_mul_f64_e32 v[0:1], v[0:1], v[31:32]
	s_delay_alu instid0(VALU_DEP_1)
	v_fma_f64 v[12:13], v[2:3], v[29:30], v[0:1]
	global_load_b128 v[29:32], v28, s[2:3] offset:6240
	ds_load_b128 v[0:3], v176 offset:19712
	s_wait_loadcnt_dscnt 0x0
	v_mul_f64_e32 v[14:15], v[2:3], v[31:32]
	scratch_store_b128 off, v[29:32], off offset:1356 ; 16-byte Folded Spill
	v_fma_f64 v[22:23], v[0:1], v[29:30], -v[14:15]
	v_mul_f64_e32 v[0:1], v[0:1], v[31:32]
	s_delay_alu instid0(VALU_DEP_1) | instskip(SKIP_4) | instid1(VALU_DEP_1)
	v_fma_f64 v[14:15], v[2:3], v[29:30], v[0:1]
	global_load_b128 v[30:33], v28, s[2:3] offset:6256
	ds_load_b128 v[0:3], v176 offset:25984
	s_wait_loadcnt_dscnt 0x0
	v_mul_f64_e32 v[28:29], v[2:3], v[32:33]
	v_fma_f64 v[48:49], v[0:1], v[30:31], -v[28:29]
	v_mul_f64_e32 v[0:1], v[0:1], v[32:33]
	s_delay_alu instid0(VALU_DEP_1)
	v_fma_f64 v[50:51], v[2:3], v[30:31], v[0:1]
	scratch_load_b32 v0, off, off offset:1388 th:TH_LOAD_LU ; 4-byte Folded Reload
	s_wait_loadcnt 0x0
	v_lshlrev_b32_e32 v44, 4, v0
	ds_load_b128 v[0:3], v176 offset:8064
	global_load_b128 v[52:55], v44, s[2:3] offset:6240
	scratch_store_b128 off, v[30:33], off offset:1372 ; 16-byte Folded Spill
	s_clause 0x1
	global_load_b128 v[32:35], v44, s[2:3] offset:6208
	global_load_b128 v[40:43], v44, s[2:3] offset:6224
	s_wait_loadcnt 0x2
	scratch_store_b128 off, v[52:55], off offset:1420 ; 16-byte Folded Spill
	s_wait_loadcnt_dscnt 0x100
	v_mul_f64_e32 v[28:29], v[2:3], v[34:35]
	scratch_store_b128 off, v[32:35], off offset:1388 ; 16-byte Folded Spill
	s_wait_loadcnt 0x0
	scratch_store_b128 off, v[40:43], off offset:1404 ; 16-byte Folded Spill
	v_fma_f64 v[30:31], v[0:1], v[32:33], -v[28:29]
	v_mul_f64_e32 v[0:1], v[0:1], v[34:35]
	s_delay_alu instid0(VALU_DEP_1) | instskip(SKIP_3) | instid1(VALU_DEP_1)
	v_fma_f64 v[28:29], v[2:3], v[32:33], v[0:1]
	ds_load_b128 v[0:3], v176 offset:14336
	s_wait_dscnt 0x0
	v_mul_f64_e32 v[32:33], v[2:3], v[42:43]
	v_fma_f64 v[34:35], v[0:1], v[40:41], -v[32:33]
	v_mul_f64_e32 v[0:1], v[0:1], v[42:43]
	s_delay_alu instid0(VALU_DEP_1) | instskip(SKIP_3) | instid1(VALU_DEP_1)
	v_fma_f64 v[32:33], v[2:3], v[40:41], v[0:1]
	ds_load_b128 v[0:3], v176 offset:20608
	s_wait_dscnt 0x0
	v_mul_f64_e32 v[40:41], v[2:3], v[54:55]
	v_fma_f64 v[42:43], v[0:1], v[52:53], -v[40:41]
	v_mul_f64_e32 v[0:1], v[0:1], v[54:55]
	s_delay_alu instid0(VALU_DEP_1) | instskip(SKIP_4) | instid1(VALU_DEP_1)
	v_fma_f64 v[40:41], v[2:3], v[52:53], v[0:1]
	global_load_b128 v[52:55], v44, s[2:3] offset:6256
	ds_load_b128 v[0:3], v176 offset:26880
	s_wait_loadcnt_dscnt 0x0
	v_mul_f64_e32 v[44:45], v[2:3], v[54:55]
	v_fma_f64 v[44:45], v[0:1], v[52:53], -v[44:45]
	v_mul_f64_e32 v[0:1], v[0:1], v[54:55]
	s_delay_alu instid0(VALU_DEP_1)
	v_fma_f64 v[46:47], v[2:3], v[52:53], v[0:1]
	scratch_load_b32 v0, off, off offset:1452 th:TH_LOAD_LU ; 4-byte Folded Reload
	s_wait_loadcnt 0x0
	v_lshlrev_b32_e32 v62, 4, v0
	ds_load_b128 v[0:3], v176 offset:8960
	s_clause 0x1
	global_load_b128 v[56:59], v62, s[2:3] offset:6208
	global_load_b128 v[63:66], v62, s[2:3] offset:6224
	scratch_store_b128 off, v[52:55], off offset:1436 ; 16-byte Folded Spill
	s_wait_loadcnt 0x1
	scratch_store_b128 off, v[56:59], off offset:1452 ; 16-byte Folded Spill
	s_wait_dscnt 0x0
	v_mul_f64_e32 v[52:53], v[2:3], v[58:59]
	s_wait_loadcnt 0x0
	scratch_store_b128 off, v[63:66], off offset:1468 ; 16-byte Folded Spill
	v_fma_f64 v[54:55], v[0:1], v[56:57], -v[52:53]
	v_mul_f64_e32 v[0:1], v[0:1], v[58:59]
	s_delay_alu instid0(VALU_DEP_1) | instskip(SKIP_3) | instid1(VALU_DEP_1)
	v_fma_f64 v[52:53], v[2:3], v[56:57], v[0:1]
	ds_load_b128 v[0:3], v176 offset:15232
	s_wait_dscnt 0x0
	v_mul_f64_e32 v[56:57], v[2:3], v[65:66]
	v_fma_f64 v[58:59], v[0:1], v[63:64], -v[56:57]
	v_mul_f64_e32 v[0:1], v[0:1], v[65:66]
	s_delay_alu instid0(VALU_DEP_1)
	v_fma_f64 v[56:57], v[2:3], v[63:64], v[0:1]
	global_load_b128 v[63:66], v62, s[2:3] offset:6240
	ds_load_b128 v[0:3], v176 offset:21504
	s_wait_loadcnt_dscnt 0x0
	v_mul_f64_e32 v[60:61], v[2:3], v[65:66]
	scratch_store_b128 off, v[63:66], off offset:1484 ; 16-byte Folded Spill
	v_fma_f64 v[110:111], v[0:1], v[63:64], -v[60:61]
	v_mul_f64_e32 v[0:1], v[0:1], v[65:66]
	s_delay_alu instid0(VALU_DEP_1)
	v_fma_f64 v[108:109], v[2:3], v[63:64], v[0:1]
	global_load_b128 v[62:65], v62, s[2:3] offset:6256
	ds_load_b128 v[0:3], v176 offset:27776
	s_wait_loadcnt_dscnt 0x0
	v_mul_f64_e32 v[60:61], v[2:3], v[64:65]
	scratch_store_b128 off, v[62:65], off offset:1500 ; 16-byte Folded Spill
	v_fma_f64 v[228:229], v[0:1], v[62:63], -v[60:61]
	v_mul_f64_e32 v[0:1], v[0:1], v[64:65]
	s_delay_alu instid0(VALU_DEP_1)
	v_fma_f64 v[230:231], v[2:3], v[62:63], v[0:1]
	scratch_load_b32 v62, off, off offset:20 ; 4-byte Folded Reload
	ds_load_b128 v[0:3], v176 offset:9856
	s_wait_loadcnt 0x0
	global_load_b128 v[63:66], v62, s[2:3] offset:6208
	s_wait_loadcnt_dscnt 0x0
	v_mul_f64_e32 v[60:61], v[2:3], v[65:66]
	scratch_store_b128 off, v[63:66], off offset:1516 ; 16-byte Folded Spill
	v_fma_f64 v[94:95], v[0:1], v[63:64], -v[60:61]
	v_mul_f64_e32 v[0:1], v[0:1], v[65:66]
	s_delay_alu instid0(VALU_DEP_1)
	v_fma_f64 v[92:93], v[2:3], v[63:64], v[0:1]
	global_load_b128 v[63:66], v62, s[2:3] offset:6224
	ds_load_b128 v[0:3], v176 offset:16128
	s_wait_loadcnt_dscnt 0x0
	v_mul_f64_e32 v[60:61], v[2:3], v[65:66]
	scratch_store_b128 off, v[63:66], off offset:1532 ; 16-byte Folded Spill
	v_fma_f64 v[102:103], v[0:1], v[63:64], -v[60:61]
	v_mul_f64_e32 v[0:1], v[0:1], v[65:66]
	s_delay_alu instid0(VALU_DEP_2) | instskip(NEXT) | instid1(VALU_DEP_2)
	v_add_f64_e64 v[166:167], v[102:103], -v[94:95]
	v_fma_f64 v[96:97], v[2:3], v[63:64], v[0:1]
	global_load_b128 v[63:66], v62, s[2:3] offset:6240
	ds_load_b128 v[0:3], v176 offset:22400
	s_wait_loadcnt_dscnt 0x0
	v_mul_f64_e32 v[60:61], v[2:3], v[65:66]
	scratch_store_b128 off, v[63:66], off offset:1564 ; 16-byte Folded Spill
	v_fma_f64 v[100:101], v[0:1], v[63:64], -v[60:61]
	v_mul_f64_e32 v[0:1], v[0:1], v[65:66]
	s_delay_alu instid0(VALU_DEP_1)
	v_fma_f64 v[98:99], v[2:3], v[63:64], v[0:1]
	global_load_b128 v[62:65], v62, s[2:3] offset:6256
	ds_load_b128 v[0:3], v176 offset:28672
	s_wait_loadcnt_dscnt 0x0
	v_mul_f64_e32 v[60:61], v[2:3], v[64:65]
	scratch_store_b128 off, v[62:65], off offset:1548 ; 16-byte Folded Spill
	v_fma_f64 v[104:105], v[0:1], v[62:63], -v[60:61]
	v_mul_f64_e32 v[0:1], v[0:1], v[64:65]
	s_delay_alu instid0(VALU_DEP_1)
	v_fma_f64 v[106:107], v[2:3], v[62:63], v[0:1]
	scratch_load_b32 v0, off, off offset:1580 th:TH_LOAD_LU ; 4-byte Folded Reload
	s_wait_loadcnt 0x0
	v_lshlrev_b32_e32 v62, 4, v0
	ds_load_b128 v[0:3], v176 offset:10752
	global_load_b128 v[63:66], v62, s[2:3] offset:6208
	s_wait_loadcnt_dscnt 0x0
	v_mul_f64_e32 v[60:61], v[2:3], v[65:66]
	scratch_store_b128 off, v[63:66], off offset:1580 ; 16-byte Folded Spill
	v_fma_f64 v[78:79], v[0:1], v[63:64], -v[60:61]
	v_mul_f64_e32 v[0:1], v[0:1], v[65:66]
	s_delay_alu instid0(VALU_DEP_1)
	v_fma_f64 v[76:77], v[2:3], v[63:64], v[0:1]
	global_load_b128 v[63:66], v62, s[2:3] offset:6224
	ds_load_b128 v[0:3], v176 offset:17024
	s_wait_loadcnt_dscnt 0x0
	v_mul_f64_e32 v[60:61], v[2:3], v[65:66]
	scratch_store_b128 off, v[63:66], off offset:1612 ; 16-byte Folded Spill
	v_fma_f64 v[84:85], v[0:1], v[63:64], -v[60:61]
	v_mul_f64_e32 v[0:1], v[0:1], v[65:66]
	s_delay_alu instid0(VALU_DEP_1)
	v_fma_f64 v[80:81], v[2:3], v[63:64], v[0:1]
	global_load_b128 v[63:66], v62, s[2:3] offset:6240
	ds_load_b128 v[0:3], v176 offset:23296
	s_wait_loadcnt_dscnt 0x0
	v_mul_f64_e32 v[60:61], v[2:3], v[65:66]
	scratch_store_b128 off, v[63:66], off offset:1596 ; 16-byte Folded Spill
	v_fma_f64 v[86:87], v[0:1], v[63:64], -v[60:61]
	v_mul_f64_e32 v[0:1], v[0:1], v[65:66]
	s_delay_alu instid0(VALU_DEP_2) | instskip(NEXT) | instid1(VALU_DEP_2)
	v_add_f64_e64 v[179:180], v[84:85], -v[86:87]
	v_fma_f64 v[82:83], v[2:3], v[63:64], v[0:1]
	global_load_b128 v[62:65], v62, s[2:3] offset:6256
	ds_load_b128 v[0:3], v176 offset:29568
	s_wait_loadcnt_dscnt 0x0
	v_mul_f64_e32 v[60:61], v[2:3], v[64:65]
	scratch_store_b128 off, v[62:65], off offset:1628 ; 16-byte Folded Spill
	v_fma_f64 v[88:89], v[0:1], v[62:63], -v[60:61]
	v_mul_f64_e32 v[0:1], v[0:1], v[64:65]
	global_load_b128 v[64:67], v72, s[2:3] offset:6208
	v_add_f64_e64 v[177:178], v[78:79], -v[88:89]
	v_fma_f64 v[90:91], v[2:3], v[62:63], v[0:1]
	ds_load_b128 v[0:3], v176 offset:11648
	s_wait_loadcnt_dscnt 0x0
	v_mul_f64_e32 v[60:61], v[2:3], v[66:67]
	scratch_store_b128 off, v[64:67], off offset:1644 ; 16-byte Folded Spill
	v_fma_f64 v[62:63], v[0:1], v[64:65], -v[60:61]
	v_mul_f64_e32 v[0:1], v[0:1], v[66:67]
	s_delay_alu instid0(VALU_DEP_1) | instskip(SKIP_3) | instid1(VALU_DEP_1)
	v_fma_f64 v[60:61], v[2:3], v[64:65], v[0:1]
	ds_load_b128 v[0:3], v176 offset:17920
	s_wait_dscnt 0x0
	v_mul_f64_e32 v[64:65], v[2:3], v[114:115]
	v_fma_f64 v[68:69], v[0:1], v[112:113], -v[64:65]
	v_mul_f64_e32 v[0:1], v[0:1], v[114:115]
	s_delay_alu instid0(VALU_DEP_1)
	v_fma_f64 v[70:71], v[2:3], v[112:113], v[0:1]
	global_load_b128 v[112:115], v72, s[2:3] offset:6240
	ds_load_b128 v[0:3], v176 offset:24192
	s_mov_b32 s2, 0x4755a5e
	s_mov_b32 s3, 0x3fe2cf23
	s_wait_alu 0xfffe
	s_mov_b32 s8, s2
	s_wait_loadcnt_dscnt 0x0
	v_mul_f64_e32 v[64:65], v[2:3], v[114:115]
	scratch_store_b128 off, v[112:115], off offset:1676 ; 16-byte Folded Spill
	v_fma_f64 v[66:67], v[0:1], v[112:113], -v[64:65]
	v_mul_f64_e32 v[0:1], v[0:1], v[114:115]
	s_delay_alu instid0(VALU_DEP_1) | instskip(SKIP_3) | instid1(VALU_DEP_1)
	v_fma_f64 v[64:65], v[2:3], v[112:113], v[0:1]
	ds_load_b128 v[0:3], v176 offset:30464
	s_wait_dscnt 0x0
	v_mul_f64_e32 v[72:73], v[2:3], v[162:163]
	v_fma_f64 v[72:73], v[0:1], v[160:161], -v[72:73]
	v_mul_f64_e32 v[0:1], v[0:1], v[162:163]
	s_delay_alu instid0(VALU_DEP_1) | instskip(SKIP_2) | instid1(VALU_DEP_1)
	v_fma_f64 v[74:75], v[2:3], v[160:161], v[0:1]
	v_add_f64_e64 v[0:1], v[4:5], -v[16:17]
	v_add_f64_e64 v[2:3], v[36:37], -v[24:25]
	v_add_f64_e32 v[112:113], v[0:1], v[2:3]
	v_add_f64_e64 v[0:1], v[6:7], -v[18:19]
	v_add_f64_e64 v[2:3], v[38:39], -v[26:27]
	s_delay_alu instid0(VALU_DEP_1) | instskip(SKIP_4) | instid1(VALU_DEP_2)
	v_add_f64_e32 v[114:115], v[0:1], v[2:3]
	ds_load_b128 v[0:3], v176
	s_wait_dscnt 0x0
	v_fma_f64 v[116:117], v[116:117], -0.5, v[0:1]
	v_fma_f64 v[118:119], v[118:119], -0.5, v[2:3]
	v_fma_f64 v[124:125], v[120:121], s[14:15], v[116:117]
	s_delay_alu instid0(VALU_DEP_2) | instskip(SKIP_2) | instid1(VALU_DEP_4)
	v_fma_f64 v[156:157], v[152:153], s[16:17], v[118:119]
	v_fma_f64 v[116:117], v[120:121], s[16:17], v[116:117]
	;; [unrolled: 1-line block ×4, first 2 shown]
	s_wait_alu 0xfffe
	s_delay_alu instid0(VALU_DEP_4) | instskip(NEXT) | instid1(VALU_DEP_4)
	v_fma_f64 v[156:157], v[154:155], s[8:9], v[156:157]
	v_fma_f64 v[116:117], v[122:123], s[8:9], v[116:117]
	s_delay_alu instid0(VALU_DEP_4) | instskip(NEXT) | instid1(VALU_DEP_4)
	v_fma_f64 v[118:119], v[154:155], s[2:3], v[118:119]
	v_fma_f64 v[240:241], v[112:113], s[18:19], v[124:125]
	;; [unrolled: 3-line block ×3, first 2 shown]
	s_delay_alu instid0(VALU_DEP_4)
	v_fma_f64 v[246:247], v[114:115], s[18:19], v[118:119]
	v_add_f64_e32 v[112:113], v[4:5], v[36:37]
	v_add_f64_e32 v[114:115], v[6:7], v[38:39]
	v_add_f64_e64 v[116:117], v[10:11], -v[48:49]
	v_add_f64_e64 v[118:119], v[20:21], -v[22:23]
	;; [unrolled: 1-line block ×3, first 2 shown]
	v_fma_f64 v[112:113], v[112:113], -0.5, v[0:1]
	v_fma_f64 v[114:115], v[114:115], -0.5, v[2:3]
	v_add_f64_e32 v[0:1], v[0:1], v[4:5]
	v_add_f64_e32 v[2:3], v[2:3], v[6:7]
	v_add_f64_e64 v[4:5], v[16:17], -v[4:5]
	v_add_f64_e64 v[6:7], v[18:19], -v[6:7]
	s_delay_alu instid0(VALU_DEP_4) | instskip(NEXT) | instid1(VALU_DEP_4)
	v_add_f64_e32 v[0:1], v[0:1], v[16:17]
	v_add_f64_e32 v[2:3], v[2:3], v[18:19]
	s_delay_alu instid0(VALU_DEP_2) | instskip(NEXT) | instid1(VALU_DEP_2)
	v_add_f64_e32 v[0:1], v[0:1], v[24:25]
	v_add_f64_e32 v[2:3], v[2:3], v[26:27]
	v_add_f64_e64 v[24:25], v[24:25], -v[36:37]
	s_delay_alu instid0(VALU_DEP_3) | instskip(NEXT) | instid1(VALU_DEP_3)
	v_add_f64_e32 v[16:17], v[0:1], v[36:37]
	v_add_f64_e32 v[18:19], v[2:3], v[38:39]
	v_add_f64_e64 v[0:1], v[26:27], -v[38:39]
	v_fma_f64 v[2:3], v[122:123], s[16:17], v[112:113]
	v_fma_f64 v[26:27], v[122:123], s[14:15], v[112:113]
	;; [unrolled: 1-line block ×4, first 2 shown]
	v_add_f64_e32 v[4:5], v[4:5], v[24:25]
	v_add_f64_e64 v[112:113], v[8:9], -v[50:51]
	v_add_f64_e64 v[114:115], v[12:13], -v[14:15]
	;; [unrolled: 1-line block ×3, first 2 shown]
	v_add_f64_e32 v[0:1], v[6:7], v[0:1]
	v_fma_f64 v[2:3], v[120:121], s[2:3], v[2:3]
	v_fma_f64 v[6:7], v[120:121], s[8:9], v[26:27]
	v_fma_f64 v[24:25], v[152:153], s[8:9], v[36:37]
	v_fma_f64 v[26:27], v[152:153], s[2:3], v[38:39]
	v_add_f64_e32 v[152:153], v[234:235], v[52:53]
	v_fma_f64 v[252:253], v[4:5], s[18:19], v[2:3]
	v_add_f64_e64 v[2:3], v[48:49], -v[22:23]
	v_fma_f64 v[254:255], v[0:1], s[18:19], v[24:25]
	v_fma_f64 v[250:251], v[0:1], s[18:19], v[26:27]
	v_add_f64_e64 v[0:1], v[10:11], -v[20:21]
	v_fma_f64 v[248:249], v[4:5], s[18:19], v[6:7]
	ds_load_b128 v[24:27], v176 offset:896
	v_add_f64_e32 v[4:5], v[0:1], v[2:3]
	v_add_f64_e64 v[0:1], v[8:9], -v[12:13]
	v_add_f64_e64 v[2:3], v[50:51], -v[14:15]
	s_delay_alu instid0(VALU_DEP_1) | instskip(SKIP_2) | instid1(VALU_DEP_1)
	v_add_f64_e32 v[6:7], v[0:1], v[2:3]
	v_add_f64_e32 v[0:1], v[20:21], v[22:23]
	s_wait_dscnt 0x0
	v_fma_f64 v[36:37], v[0:1], -0.5, v[24:25]
	v_add_f64_e32 v[0:1], v[12:13], v[14:15]
	s_delay_alu instid0(VALU_DEP_1) | instskip(NEXT) | instid1(VALU_DEP_3)
	v_fma_f64 v[38:39], v[0:1], -0.5, v[26:27]
	v_fma_f64 v[0:1], v[112:113], s[14:15], v[36:37]
	v_fma_f64 v[36:37], v[112:113], s[16:17], v[36:37]
	s_delay_alu instid0(VALU_DEP_3) | instskip(NEXT) | instid1(VALU_DEP_3)
	v_fma_f64 v[2:3], v[116:117], s[16:17], v[38:39]
	v_fma_f64 v[0:1], v[114:115], s[2:3], v[0:1]
	s_delay_alu instid0(VALU_DEP_3) | instskip(SKIP_1) | instid1(VALU_DEP_4)
	v_fma_f64 v[36:37], v[114:115], s[8:9], v[36:37]
	v_fma_f64 v[38:39], v[116:117], s[14:15], v[38:39]
	;; [unrolled: 1-line block ×3, first 2 shown]
	s_delay_alu instid0(VALU_DEP_4) | instskip(NEXT) | instid1(VALU_DEP_4)
	v_fma_f64 v[0:1], v[4:5], s[18:19], v[0:1]
	v_fma_f64 v[4:5], v[4:5], s[18:19], v[36:37]
	v_add_f64_e32 v[36:37], v[10:11], v[48:49]
	v_fma_f64 v[38:39], v[118:119], s[2:3], v[38:39]
	v_fma_f64 v[2:3], v[6:7], s[18:19], v[2:3]
	s_delay_alu instid0(VALU_DEP_3) | instskip(SKIP_4) | instid1(VALU_DEP_4)
	v_fma_f64 v[120:121], v[36:37], -0.5, v[24:25]
	v_add_f64_e32 v[36:37], v[8:9], v[50:51]
	v_add_f64_e32 v[24:25], v[24:25], v[10:11]
	v_add_f64_e64 v[10:11], v[20:21], -v[10:11]
	v_fma_f64 v[6:7], v[6:7], s[18:19], v[38:39]
	v_fma_f64 v[122:123], v[36:37], -0.5, v[26:27]
	v_add_f64_e32 v[26:27], v[26:27], v[8:9]
	v_add_f64_e32 v[20:21], v[24:25], v[20:21]
	v_add_f64_e64 v[8:9], v[12:13], -v[8:9]
	s_delay_alu instid0(VALU_DEP_3) | instskip(NEXT) | instid1(VALU_DEP_3)
	v_add_f64_e32 v[24:25], v[26:27], v[12:13]
	v_add_f64_e32 v[12:13], v[20:21], v[22:23]
	v_add_f64_e64 v[22:23], v[22:23], -v[48:49]
	v_fma_f64 v[26:27], v[118:119], s[16:17], v[122:123]
	s_delay_alu instid0(VALU_DEP_4) | instskip(NEXT) | instid1(VALU_DEP_4)
	v_add_f64_e32 v[20:21], v[24:25], v[14:15]
	v_add_f64_e32 v[36:37], v[12:13], v[48:49]
	v_add_f64_e64 v[12:13], v[14:15], -v[50:51]
	v_fma_f64 v[14:15], v[114:115], s[16:17], v[120:121]
	v_fma_f64 v[24:25], v[118:119], s[14:15], v[122:123]
	v_add_f64_e32 v[10:11], v[10:11], v[22:23]
	v_add_f64_e64 v[118:119], v[32:33], -v[40:41]
	v_add_f64_e64 v[122:123], v[34:35], -v[42:43]
	v_add_f64_e32 v[38:39], v[20:21], v[50:51]
	v_fma_f64 v[20:21], v[114:115], s[14:15], v[120:121]
	v_add_f64_e32 v[22:23], v[8:9], v[12:13]
	v_fma_f64 v[8:9], v[112:113], s[2:3], v[14:15]
	v_fma_f64 v[14:15], v[116:117], s[8:9], v[24:25]
	;; [unrolled: 1-line block ×3, first 2 shown]
	ds_load_b128 v[48:51], v176 offset:1792
	v_add_f64_e64 v[116:117], v[28:29], -v[46:47]
	v_add_f64_e64 v[120:121], v[30:31], -v[44:45]
	v_fma_f64 v[20:21], v[112:113], s[8:9], v[20:21]
	v_fma_f64 v[12:13], v[10:11], s[18:19], v[8:9]
	;; [unrolled: 1-line block ×3, first 2 shown]
	s_delay_alu instid0(VALU_DEP_3) | instskip(SKIP_3) | instid1(VALU_DEP_1)
	v_fma_f64 v[8:9], v[10:11], s[18:19], v[20:21]
	v_fma_f64 v[10:11], v[22:23], s[18:19], v[24:25]
	v_add_f64_e64 v[20:21], v[30:31], -v[34:35]
	v_add_f64_e64 v[22:23], v[44:45], -v[42:43]
	v_add_f64_e32 v[24:25], v[20:21], v[22:23]
	v_add_f64_e64 v[20:21], v[28:29], -v[32:33]
	v_add_f64_e64 v[22:23], v[46:47], -v[40:41]
	s_delay_alu instid0(VALU_DEP_1) | instskip(SKIP_2) | instid1(VALU_DEP_1)
	v_add_f64_e32 v[26:27], v[20:21], v[22:23]
	v_add_f64_e32 v[20:21], v[34:35], v[42:43]
	s_wait_dscnt 0x0
	v_fma_f64 v[112:113], v[20:21], -0.5, v[48:49]
	v_add_f64_e32 v[20:21], v[32:33], v[40:41]
	s_delay_alu instid0(VALU_DEP_1) | instskip(NEXT) | instid1(VALU_DEP_3)
	v_fma_f64 v[114:115], v[20:21], -0.5, v[50:51]
	v_fma_f64 v[20:21], v[116:117], s[14:15], v[112:113]
	v_fma_f64 v[112:113], v[116:117], s[16:17], v[112:113]
	s_delay_alu instid0(VALU_DEP_3) | instskip(SKIP_1) | instid1(VALU_DEP_4)
	v_fma_f64 v[22:23], v[120:121], s[16:17], v[114:115]
	v_fma_f64 v[114:115], v[120:121], s[14:15], v[114:115]
	;; [unrolled: 1-line block ×3, first 2 shown]
	s_delay_alu instid0(VALU_DEP_4) | instskip(NEXT) | instid1(VALU_DEP_4)
	v_fma_f64 v[112:113], v[118:119], s[8:9], v[112:113]
	v_fma_f64 v[22:23], v[122:123], s[8:9], v[22:23]
	s_delay_alu instid0(VALU_DEP_4) | instskip(NEXT) | instid1(VALU_DEP_4)
	v_fma_f64 v[114:115], v[122:123], s[2:3], v[114:115]
	v_fma_f64 v[20:21], v[24:25], s[18:19], v[20:21]
	s_delay_alu instid0(VALU_DEP_4) | instskip(SKIP_4) | instid1(VALU_DEP_4)
	v_fma_f64 v[24:25], v[24:25], s[18:19], v[112:113]
	v_add_f64_e32 v[112:113], v[30:31], v[44:45]
	v_fma_f64 v[22:23], v[26:27], s[18:19], v[22:23]
	v_fma_f64 v[26:27], v[26:27], s[18:19], v[114:115]
	v_add_f64_e32 v[114:115], v[28:29], v[46:47]
	v_fma_f64 v[112:113], v[112:113], -0.5, v[48:49]
	v_add_f64_e32 v[48:49], v[48:49], v[30:31]
	v_add_f64_e64 v[30:31], v[34:35], -v[30:31]
	s_delay_alu instid0(VALU_DEP_4) | instskip(SKIP_3) | instid1(VALU_DEP_3)
	v_fma_f64 v[114:115], v[114:115], -0.5, v[50:51]
	v_add_f64_e32 v[50:51], v[50:51], v[28:29]
	v_add_f64_e64 v[28:29], v[32:33], -v[28:29]
	v_add_f64_e32 v[34:35], v[48:49], v[34:35]
	v_add_f64_e32 v[48:49], v[50:51], v[32:33]
	s_delay_alu instid0(VALU_DEP_2) | instskip(SKIP_1) | instid1(VALU_DEP_3)
	v_add_f64_e32 v[32:33], v[34:35], v[42:43]
	v_add_f64_e64 v[42:43], v[42:43], -v[44:45]
	v_add_f64_e32 v[34:35], v[48:49], v[40:41]
	s_delay_alu instid0(VALU_DEP_3)
	v_add_f64_e32 v[48:49], v[32:33], v[44:45]
	v_add_f64_e64 v[32:33], v[40:41], -v[46:47]
	v_fma_f64 v[40:41], v[118:119], s[14:15], v[112:113]
	v_add_f64_e32 v[42:43], v[30:31], v[42:43]
	v_fma_f64 v[44:45], v[122:123], s[14:15], v[114:115]
	v_add_f64_e32 v[50:51], v[34:35], v[46:47]
	v_fma_f64 v[34:35], v[118:119], s[16:17], v[112:113]
	v_fma_f64 v[46:47], v[122:123], s[16:17], v[114:115]
	v_add_f64_e32 v[112:113], v[28:29], v[32:33]
	v_fma_f64 v[32:33], v[116:117], s[8:9], v[40:41]
	v_add_f64_e64 v[40:41], v[54:55], -v[58:59]
	v_fma_f64 v[30:31], v[120:121], s[8:9], v[44:45]
	v_add_f64_e64 v[118:119], v[56:57], -v[108:109]
	v_add_f64_e64 v[122:123], v[58:59], -v[110:111]
	v_fma_f64 v[28:29], v[116:117], s[2:3], v[34:35]
	v_fma_f64 v[34:35], v[120:121], s[2:3], v[46:47]
	v_add_f64_e64 v[116:117], v[52:53], -v[230:231]
	v_fma_f64 v[32:33], v[42:43], s[18:19], v[32:33]
	v_add_f64_e64 v[120:121], v[54:55], -v[228:229]
	v_fma_f64 v[30:31], v[112:113], s[18:19], v[30:31]
	v_fma_f64 v[28:29], v[42:43], s[18:19], v[28:29]
	v_add_f64_e64 v[42:43], v[228:229], -v[110:111]
	v_fma_f64 v[34:35], v[112:113], s[18:19], v[34:35]
	s_delay_alu instid0(VALU_DEP_2) | instskip(SKIP_2) | instid1(VALU_DEP_1)
	v_add_f64_e32 v[44:45], v[40:41], v[42:43]
	v_add_f64_e64 v[40:41], v[52:53], -v[56:57]
	v_add_f64_e64 v[42:43], v[230:231], -v[108:109]
	v_add_f64_e32 v[46:47], v[40:41], v[42:43]
	v_add_f64_e32 v[40:41], v[58:59], v[110:111]
	s_delay_alu instid0(VALU_DEP_1) | instskip(SKIP_1) | instid1(VALU_DEP_1)
	v_fma_f64 v[112:113], v[40:41], -0.5, v[232:233]
	v_add_f64_e32 v[40:41], v[56:57], v[108:109]
	v_fma_f64 v[114:115], v[40:41], -0.5, v[234:235]
	s_delay_alu instid0(VALU_DEP_3) | instskip(SKIP_1) | instid1(VALU_DEP_3)
	v_fma_f64 v[40:41], v[116:117], s[14:15], v[112:113]
	v_fma_f64 v[112:113], v[116:117], s[16:17], v[112:113]
	;; [unrolled: 1-line block ×3, first 2 shown]
	s_delay_alu instid0(VALU_DEP_3) | instskip(SKIP_1) | instid1(VALU_DEP_4)
	v_fma_f64 v[40:41], v[118:119], s[2:3], v[40:41]
	v_fma_f64 v[114:115], v[120:121], s[14:15], v[114:115]
	;; [unrolled: 1-line block ×3, first 2 shown]
	s_delay_alu instid0(VALU_DEP_4) | instskip(NEXT) | instid1(VALU_DEP_4)
	v_fma_f64 v[42:43], v[122:123], s[8:9], v[42:43]
	v_fma_f64 v[40:41], v[44:45], s[18:19], v[40:41]
	s_delay_alu instid0(VALU_DEP_4) | instskip(NEXT) | instid1(VALU_DEP_4)
	v_fma_f64 v[114:115], v[122:123], s[2:3], v[114:115]
	v_fma_f64 v[44:45], v[44:45], s[18:19], v[112:113]
	v_add_f64_e32 v[112:113], v[54:55], v[228:229]
	v_fma_f64 v[42:43], v[46:47], s[18:19], v[42:43]
	s_delay_alu instid0(VALU_DEP_4) | instskip(NEXT) | instid1(VALU_DEP_3)
	v_fma_f64 v[46:47], v[46:47], s[18:19], v[114:115]
	v_fma_f64 v[114:115], v[112:113], -0.5, v[232:233]
	v_add_f64_e32 v[112:113], v[52:53], v[230:231]
	v_add_f64_e64 v[52:53], v[56:57], -v[52:53]
	s_delay_alu instid0(VALU_DEP_2) | instskip(SKIP_2) | instid1(VALU_DEP_2)
	v_fma_f64 v[124:125], v[112:113], -0.5, v[234:235]
	v_add_f64_e32 v[112:113], v[232:233], v[54:55]
	v_add_f64_e64 v[54:55], v[58:59], -v[54:55]
	v_add_f64_e32 v[58:59], v[112:113], v[58:59]
	v_add_f64_e32 v[112:113], v[152:153], v[56:57]
	v_add_f64_e64 v[152:153], v[110:111], -v[228:229]
	s_delay_alu instid0(VALU_DEP_3) | instskip(NEXT) | instid1(VALU_DEP_3)
	v_add_f64_e32 v[56:57], v[58:59], v[110:111]
	v_add_f64_e32 v[58:59], v[112:113], v[108:109]
	s_delay_alu instid0(VALU_DEP_3) | instskip(SKIP_1) | instid1(VALU_DEP_4)
	v_add_f64_e32 v[54:55], v[54:55], v[152:153]
	v_add_f64_e64 v[152:153], v[96:97], -v[98:99]
	v_add_f64_e32 v[110:111], v[56:57], v[228:229]
	s_delay_alu instid0(VALU_DEP_4)
	v_add_f64_e32 v[112:113], v[58:59], v[230:231]
	v_add_f64_e64 v[56:57], v[108:109], -v[230:231]
	v_fma_f64 v[58:59], v[118:119], s[16:17], v[114:115]
	v_fma_f64 v[108:109], v[118:119], s[14:15], v[114:115]
	;; [unrolled: 1-line block ×4, first 2 shown]
	ds_load_b128 v[228:231], v176 offset:3584
	v_add_f64_e64 v[124:125], v[92:93], -v[106:107]
	s_wait_dscnt 0x0
	v_add_f64_e32 v[158:159], v[228:229], v[94:95]
	v_add_f64_e32 v[164:165], v[230:231], v[92:93]
	;; [unrolled: 1-line block ×3, first 2 shown]
	v_fma_f64 v[52:53], v[116:117], s[2:3], v[58:59]
	v_fma_f64 v[108:109], v[116:117], s[8:9], v[108:109]
	;; [unrolled: 1-line block ×4, first 2 shown]
	v_add_f64_e64 v[116:117], v[106:107], -v[98:99]
	v_fma_f64 v[56:57], v[54:55], s[18:19], v[52:53]
	v_fma_f64 v[52:53], v[54:55], s[18:19], v[108:109]
	v_add_f64_e64 v[108:109], v[94:95], -v[102:103]
	v_fma_f64 v[54:55], v[122:123], s[18:19], v[114:115]
	v_add_f64_e64 v[114:115], v[104:105], -v[100:101]
	v_fma_f64 v[58:59], v[122:123], s[18:19], v[58:59]
	s_delay_alu instid0(VALU_DEP_2) | instskip(SKIP_1) | instid1(VALU_DEP_1)
	v_add_f64_e32 v[108:109], v[108:109], v[114:115]
	v_add_f64_e64 v[114:115], v[92:93], -v[96:97]
	v_add_f64_e32 v[120:121], v[114:115], v[116:117]
	v_add_f64_e32 v[114:115], v[102:103], v[100:101]
	s_delay_alu instid0(VALU_DEP_1) | instskip(SKIP_1) | instid1(VALU_DEP_1)
	v_fma_f64 v[118:119], v[114:115], -0.5, v[228:229]
	v_add_f64_e32 v[114:115], v[96:97], v[98:99]
	v_fma_f64 v[122:123], v[114:115], -0.5, v[230:231]
	s_delay_alu instid0(VALU_DEP_3) | instskip(SKIP_1) | instid1(VALU_DEP_3)
	v_fma_f64 v[114:115], v[124:125], s[14:15], v[118:119]
	v_fma_f64 v[118:119], v[124:125], s[16:17], v[118:119]
	;; [unrolled: 1-line block ×4, first 2 shown]
	s_delay_alu instid0(VALU_DEP_4) | instskip(NEXT) | instid1(VALU_DEP_4)
	v_fma_f64 v[114:115], v[152:153], s[2:3], v[114:115]
	v_fma_f64 v[118:119], v[152:153], s[8:9], v[118:119]
	s_delay_alu instid0(VALU_DEP_4) | instskip(NEXT) | instid1(VALU_DEP_4)
	v_fma_f64 v[116:117], v[156:157], s[8:9], v[116:117]
	v_fma_f64 v[122:123], v[156:157], s[2:3], v[122:123]
	;; [unrolled: 3-line block ×3, first 2 shown]
	v_add_f64_e32 v[108:109], v[94:95], v[104:105]
	v_add_f64_e32 v[94:95], v[158:159], v[102:103]
	;; [unrolled: 1-line block ×3, first 2 shown]
	v_add_f64_e64 v[96:97], v[96:97], -v[92:93]
	v_add_f64_e64 v[164:165], v[76:77], -v[90:91]
	v_fma_f64 v[116:117], v[120:121], s[18:19], v[116:117]
	v_fma_f64 v[120:121], v[120:121], s[18:19], v[122:123]
	v_add_f64_e32 v[122:123], v[92:93], v[106:107]
	v_fma_f64 v[108:109], v[108:109], -0.5, v[228:229]
	v_add_f64_e32 v[92:93], v[94:95], v[100:101]
	v_add_f64_e32 v[94:95], v[102:103], v[98:99]
	v_add_f64_e64 v[100:101], v[100:101], -v[104:105]
	v_add_f64_e64 v[98:99], v[98:99], -v[106:107]
	v_fma_f64 v[122:123], v[122:123], -0.5, v[230:231]
	v_fma_f64 v[102:103], v[152:153], s[16:17], v[108:109]
	v_add_f64_e32 v[92:93], v[92:93], v[104:105]
	v_fma_f64 v[104:105], v[152:153], s[14:15], v[108:109]
	v_add_f64_e32 v[94:95], v[94:95], v[106:107]
	v_add_f64_e32 v[100:101], v[166:167], v[100:101]
	;; [unrolled: 1-line block ×3, first 2 shown]
	v_add_f64_e64 v[166:167], v[80:81], -v[82:83]
	v_fma_f64 v[108:109], v[156:157], s[16:17], v[122:123]
	v_fma_f64 v[106:107], v[156:157], s[14:15], v[122:123]
	v_add_f64_e32 v[122:123], v[96:97], v[98:99]
	v_fma_f64 v[96:97], v[124:125], s[2:3], v[102:103]
	v_fma_f64 v[102:103], v[124:125], s[8:9], v[104:105]
	v_add_f64_e32 v[124:125], v[84:85], v[86:87]
	v_fma_f64 v[104:105], v[154:155], s[2:3], v[108:109]
	v_fma_f64 v[98:99], v[154:155], s[8:9], v[106:107]
	v_add_f64_e64 v[106:107], v[88:89], -v[86:87]
	v_fma_f64 v[96:97], v[100:101], s[18:19], v[96:97]
	v_fma_f64 v[100:101], v[100:101], s[18:19], v[102:103]
	;; [unrolled: 1-line block ×3, first 2 shown]
	v_add_f64_e64 v[104:105], v[78:79], -v[84:85]
	v_fma_f64 v[98:99], v[122:123], s[18:19], v[98:99]
	s_delay_alu instid0(VALU_DEP_2) | instskip(SKIP_2) | instid1(VALU_DEP_1)
	v_add_f64_e32 v[108:109], v[104:105], v[106:107]
	v_add_f64_e64 v[104:105], v[76:77], -v[80:81]
	v_add_f64_e64 v[106:107], v[90:91], -v[82:83]
	v_add_f64_e32 v[122:123], v[104:105], v[106:107]
	ds_load_b128 v[104:107], v176 offset:4480
	s_wait_dscnt 0x0
	v_fma_f64 v[124:125], v[124:125], -0.5, v[104:105]
	v_fma_f64 v[152:153], v[152:153], -0.5, v[106:107]
	s_delay_alu instid0(VALU_DEP_2) | instskip(SKIP_1) | instid1(VALU_DEP_3)
	v_fma_f64 v[154:155], v[164:165], s[14:15], v[124:125]
	v_fma_f64 v[124:125], v[164:165], s[16:17], v[124:125]
	;; [unrolled: 1-line block ×4, first 2 shown]
	s_delay_alu instid0(VALU_DEP_4) | instskip(NEXT) | instid1(VALU_DEP_4)
	v_fma_f64 v[154:155], v[166:167], s[2:3], v[154:155]
	v_fma_f64 v[124:125], v[166:167], s[8:9], v[124:125]
	s_delay_alu instid0(VALU_DEP_4) | instskip(NEXT) | instid1(VALU_DEP_3)
	v_fma_f64 v[158:159], v[179:180], s[8:9], v[156:157]
	v_fma_f64 v[156:157], v[108:109], s[18:19], v[154:155]
	;; [unrolled: 1-line block ×3, first 2 shown]
	s_delay_alu instid0(VALU_DEP_4)
	v_fma_f64 v[152:153], v[108:109], s[18:19], v[124:125]
	v_add_f64_e32 v[108:109], v[78:79], v[88:89]
	v_fma_f64 v[158:159], v[122:123], s[18:19], v[158:159]
	v_add_f64_e64 v[124:125], v[84:85], -v[78:79]
	v_fma_f64 v[154:155], v[122:123], s[18:19], v[154:155]
	v_add_f64_e32 v[122:123], v[76:77], v[90:91]
	v_fma_f64 v[108:109], v[108:109], -0.5, v[104:105]
	v_add_f64_e32 v[104:105], v[104:105], v[78:79]
	s_delay_alu instid0(VALU_DEP_3) | instskip(SKIP_1) | instid1(VALU_DEP_3)
	v_fma_f64 v[122:123], v[122:123], -0.5, v[106:107]
	v_add_f64_e32 v[106:107], v[106:107], v[76:77]
	v_add_f64_e32 v[78:79], v[104:105], v[84:85]
	s_delay_alu instid0(VALU_DEP_3) | instskip(NEXT) | instid1(VALU_DEP_3)
	v_fma_f64 v[104:105], v[179:180], s[16:17], v[122:123]
	v_add_f64_e32 v[84:85], v[106:107], v[80:81]
	v_add_f64_e64 v[80:81], v[80:81], -v[76:77]
	s_delay_alu instid0(VALU_DEP_4) | instskip(NEXT) | instid1(VALU_DEP_3)
	v_add_f64_e32 v[76:77], v[78:79], v[86:87]
	v_add_f64_e32 v[78:79], v[84:85], v[82:83]
	v_add_f64_e64 v[84:85], v[86:87], -v[88:89]
	s_delay_alu instid0(VALU_DEP_3)
	v_add_f64_e32 v[76:77], v[76:77], v[88:89]
	v_add_f64_e64 v[82:83], v[82:83], -v[90:91]
	v_fma_f64 v[86:87], v[166:167], s[16:17], v[108:109]
	v_fma_f64 v[88:89], v[166:167], s[14:15], v[108:109]
	v_add_f64_e32 v[108:109], v[62:63], v[72:73]
	v_add_f64_e32 v[78:79], v[78:79], v[90:91]
	v_fma_f64 v[90:91], v[179:180], s[14:15], v[122:123]
	v_add_f64_e32 v[84:85], v[124:125], v[84:85]
	v_add_f64_e32 v[106:107], v[80:81], v[82:83]
	v_fma_f64 v[80:81], v[164:165], s[2:3], v[86:87]
	v_fma_f64 v[86:87], v[164:165], s[8:9], v[88:89]
	;; [unrolled: 1-line block ×3, first 2 shown]
	v_add_f64_e32 v[122:123], v[60:61], v[74:75]
	v_add_f64_e64 v[124:125], v[70:71], -v[64:65]
	v_add_f64_e64 v[164:165], v[60:61], -v[74:75]
	;; [unrolled: 1-line block ×3, first 2 shown]
	v_fma_f64 v[82:83], v[177:178], s[8:9], v[90:91]
	v_add_f64_e64 v[90:91], v[66:67], -v[72:73]
	v_add_f64_e64 v[177:178], v[68:69], -v[66:67]
	v_fma_f64 v[80:81], v[84:85], s[18:19], v[80:81]
	v_fma_f64 v[84:85], v[84:85], s[18:19], v[86:87]
	;; [unrolled: 1-line block ×3, first 2 shown]
	v_add_f64_e64 v[88:89], v[68:69], -v[62:63]
	v_fma_f64 v[82:83], v[106:107], s[18:19], v[82:83]
	s_delay_alu instid0(VALU_DEP_2) | instskip(SKIP_2) | instid1(VALU_DEP_1)
	v_add_f64_e32 v[104:105], v[88:89], v[90:91]
	v_add_f64_e64 v[88:89], v[70:71], -v[60:61]
	v_add_f64_e64 v[90:91], v[64:65], -v[74:75]
	v_add_f64_e32 v[106:107], v[88:89], v[90:91]
	ds_load_b128 v[88:91], v176 offset:5376
	s_wait_dscnt 0x0
	v_fma_f64 v[108:109], v[108:109], -0.5, v[88:89]
	v_fma_f64 v[122:123], v[122:123], -0.5, v[90:91]
	s_delay_alu instid0(VALU_DEP_2) | instskip(NEXT) | instid1(VALU_DEP_2)
	v_fma_f64 v[166:167], v[124:125], s[16:17], v[108:109]
	v_fma_f64 v[181:182], v[177:178], s[14:15], v[122:123]
	;; [unrolled: 1-line block ×4, first 2 shown]
	s_delay_alu instid0(VALU_DEP_4) | instskip(NEXT) | instid1(VALU_DEP_4)
	v_fma_f64 v[166:167], v[164:165], s[2:3], v[166:167]
	v_fma_f64 v[181:182], v[179:180], s[8:9], v[181:182]
	s_delay_alu instid0(VALU_DEP_4) | instskip(NEXT) | instid1(VALU_DEP_4)
	v_fma_f64 v[108:109], v[164:165], s[8:9], v[108:109]
	v_fma_f64 v[122:123], v[179:180], s[2:3], v[122:123]
	;; [unrolled: 3-line block ×4, first 2 shown]
	v_add_f64_e32 v[104:105], v[68:69], v[66:67]
	v_add_f64_e32 v[106:107], v[70:71], v[64:65]
	v_add_f64_e64 v[108:109], v[62:63], -v[68:69]
	s_delay_alu instid0(VALU_DEP_3) | instskip(NEXT) | instid1(VALU_DEP_3)
	v_fma_f64 v[104:105], v[104:105], -0.5, v[88:89]
	v_fma_f64 v[106:107], v[106:107], -0.5, v[90:91]
	v_add_f64_e32 v[88:89], v[88:89], v[62:63]
	v_add_f64_e32 v[90:91], v[90:91], v[60:61]
	s_delay_alu instid0(VALU_DEP_2) | instskip(NEXT) | instid1(VALU_DEP_2)
	v_add_f64_e32 v[62:63], v[88:89], v[68:69]
	v_add_f64_e32 v[68:69], v[90:91], v[70:71]
	v_add_f64_e64 v[70:71], v[60:61], -v[70:71]
	v_fma_f64 v[88:89], v[179:180], s[14:15], v[106:107]
	s_delay_alu instid0(VALU_DEP_4) | instskip(NEXT) | instid1(VALU_DEP_4)
	v_add_f64_e32 v[60:61], v[62:63], v[66:67]
	v_add_f64_e32 v[62:63], v[68:69], v[64:65]
	v_add_f64_e64 v[66:67], v[72:73], -v[66:67]
	v_add_f64_e64 v[64:65], v[74:75], -v[64:65]
	v_fma_f64 v[68:69], v[164:165], s[14:15], v[104:105]
	v_add_f64_e32 v[60:61], v[60:61], v[72:73]
	v_add_f64_e32 v[62:63], v[62:63], v[74:75]
	v_fma_f64 v[74:75], v[179:180], s[16:17], v[106:107]
	v_fma_f64 v[72:73], v[164:165], s[16:17], v[104:105]
	v_add_f64_e32 v[90:91], v[108:109], v[66:67]
	v_add_f64_e32 v[70:71], v[70:71], v[64:65]
	v_fma_f64 v[64:65], v[124:125], s[2:3], v[68:69]
	v_fma_f64 v[66:67], v[177:178], s[8:9], v[74:75]
	;; [unrolled: 1-line block ×4, first 2 shown]
	s_add_nc_u64 s[2:3], s[12:13], 0x7a80
	s_delay_alu instid0(VALU_DEP_4) | instskip(NEXT) | instid1(VALU_DEP_4)
	v_fma_f64 v[64:65], v[90:91], s[18:19], v[64:65]
	v_fma_f64 v[66:67], v[70:71], s[18:19], v[66:67]
	s_delay_alu instid0(VALU_DEP_4) | instskip(NEXT) | instid1(VALU_DEP_4)
	v_fma_f64 v[236:237], v[90:91], s[18:19], v[68:69]
	v_fma_f64 v[238:239], v[70:71], s[18:19], v[72:73]
	ds_store_b128 v176, v[16:19]
	ds_store_b128 v176, v[36:39] offset:896
	ds_store_b128 v176, v[48:51] offset:1792
	;; [unrolled: 1-line block ×34, first 2 shown]
	global_wb scope:SCOPE_SE
	s_wait_storecnt_dscnt 0x0
	s_barrier_signal -1
	s_barrier_wait -1
	global_inv scope:SCOPE_SE
	scratch_load_b64 v[0:1], off, off offset:12 ; 8-byte Folded Reload
	ds_load_b128 v[4:7], v176
	ds_load_b128 v[25:28], v176 offset:896
	ds_load_b128 v[13:16], v176 offset:15680
	;; [unrolled: 1-line block ×30, first 2 shown]
	s_wait_loadcnt 0x0
	global_load_b128 v[0:3], v[0:1], off offset:31360
	s_wait_loadcnt_dscnt 0x1e
	v_mul_f64_e32 v[8:9], v[6:7], v[2:3]
	v_mul_f64_e32 v[2:3], v[4:5], v[2:3]
	s_delay_alu instid0(VALU_DEP_2) | instskip(NEXT) | instid1(VALU_DEP_2)
	v_fma_f64 v[240:241], v[4:5], v[0:1], -v[8:9]
	v_fma_f64 v[242:243], v[6:7], v[0:1], v[2:3]
	scratch_load_b32 v0, off, off           ; 4-byte Folded Reload
	ds_load_b128 v[4:7], v176 offset:7840
	s_wait_loadcnt 0x0
	v_lshlrev_b32_e32 v8, 4, v0
	s_clause 0x1
	global_load_b128 v[0:3], v8, s[2:3] offset:7840
	global_load_b128 v[244:247], v8, s[2:3] offset:20160
	s_wait_loadcnt_dscnt 0x100
	v_mul_f64_e32 v[9:10], v[6:7], v[2:3]
	v_mul_f64_e32 v[11:12], v[4:5], v[2:3]
	s_delay_alu instid0(VALU_DEP_2) | instskip(NEXT) | instid1(VALU_DEP_2)
	v_fma_f64 v[2:3], v[4:5], v[0:1], -v[9:10]
	v_fma_f64 v[4:5], v[6:7], v[0:1], v[11:12]
	global_load_b128 v[9:12], v8, s[2:3] offset:15680
	s_wait_loadcnt 0x0
	v_mul_f64_e32 v[0:1], v[15:16], v[11:12]
	v_mul_f64_e32 v[6:7], v[13:14], v[11:12]
	s_delay_alu instid0(VALU_DEP_2) | instskip(NEXT) | instid1(VALU_DEP_2)
	v_fma_f64 v[11:12], v[13:14], v[9:10], -v[0:1]
	v_fma_f64 v[13:14], v[15:16], v[9:10], v[6:7]
	global_load_b128 v[15:18], v8, s[2:3] offset:23520
	s_wait_loadcnt 0x0
	v_mul_f64_e32 v[0:1], v[21:22], v[17:18]
	v_mul_f64_e32 v[6:7], v[19:20], v[17:18]
	s_delay_alu instid0(VALU_DEP_2) | instskip(NEXT) | instid1(VALU_DEP_2)
	v_fma_f64 v[17:18], v[19:20], v[15:16], -v[0:1]
	v_fma_f64 v[19:20], v[21:22], v[15:16], v[6:7]
	global_load_b128 v[21:24], v8, s[2:3] offset:896
	s_wait_loadcnt 0x0
	v_mul_f64_e32 v[0:1], v[27:28], v[23:24]
	v_mul_f64_e32 v[6:7], v[25:26], v[23:24]
	s_delay_alu instid0(VALU_DEP_2) | instskip(NEXT) | instid1(VALU_DEP_2)
	v_fma_f64 v[23:24], v[25:26], v[21:22], -v[0:1]
	v_fma_f64 v[25:26], v[27:28], v[21:22], v[6:7]
	global_load_b128 v[27:30], v8, s[2:3] offset:8736
	s_wait_loadcnt 0x0
	v_mul_f64_e32 v[0:1], v[33:34], v[29:30]
	v_mul_f64_e32 v[6:7], v[31:32], v[29:30]
	s_delay_alu instid0(VALU_DEP_2) | instskip(NEXT) | instid1(VALU_DEP_2)
	v_fma_f64 v[29:30], v[31:32], v[27:28], -v[0:1]
	v_fma_f64 v[31:32], v[33:34], v[27:28], v[6:7]
	global_load_b128 v[33:36], v8, s[2:3] offset:16576
	s_wait_loadcnt 0x0
	v_mul_f64_e32 v[0:1], v[39:40], v[35:36]
	v_mul_f64_e32 v[6:7], v[37:38], v[35:36]
	s_delay_alu instid0(VALU_DEP_2) | instskip(NEXT) | instid1(VALU_DEP_2)
	v_fma_f64 v[35:36], v[37:38], v[33:34], -v[0:1]
	v_fma_f64 v[37:38], v[39:40], v[33:34], v[6:7]
	global_load_b128 v[39:42], v8, s[2:3] offset:24416
	s_wait_loadcnt 0x0
	v_mul_f64_e32 v[0:1], v[45:46], v[41:42]
	v_mul_f64_e32 v[6:7], v[43:44], v[41:42]
	s_delay_alu instid0(VALU_DEP_2) | instskip(NEXT) | instid1(VALU_DEP_2)
	v_fma_f64 v[41:42], v[43:44], v[39:40], -v[0:1]
	v_fma_f64 v[43:44], v[45:46], v[39:40], v[6:7]
	global_load_b128 v[45:48], v8, s[2:3] offset:1792
	s_wait_loadcnt 0x0
	v_mul_f64_e32 v[0:1], v[51:52], v[47:48]
	v_mul_f64_e32 v[6:7], v[49:50], v[47:48]
	s_delay_alu instid0(VALU_DEP_2) | instskip(NEXT) | instid1(VALU_DEP_2)
	v_fma_f64 v[47:48], v[49:50], v[45:46], -v[0:1]
	v_fma_f64 v[49:50], v[51:52], v[45:46], v[6:7]
	global_load_b128 v[51:54], v8, s[2:3] offset:9632
	s_wait_loadcnt 0x0
	v_mul_f64_e32 v[0:1], v[57:58], v[53:54]
	v_mul_f64_e32 v[6:7], v[55:56], v[53:54]
	s_delay_alu instid0(VALU_DEP_2) | instskip(NEXT) | instid1(VALU_DEP_2)
	v_fma_f64 v[53:54], v[55:56], v[51:52], -v[0:1]
	v_fma_f64 v[55:56], v[57:58], v[51:52], v[6:7]
	global_load_b128 v[57:60], v8, s[2:3] offset:17472
	s_wait_loadcnt 0x0
	v_mul_f64_e32 v[0:1], v[63:64], v[59:60]
	v_mul_f64_e32 v[6:7], v[61:62], v[59:60]
	s_delay_alu instid0(VALU_DEP_2) | instskip(NEXT) | instid1(VALU_DEP_2)
	v_fma_f64 v[59:60], v[61:62], v[57:58], -v[0:1]
	v_fma_f64 v[61:62], v[63:64], v[57:58], v[6:7]
	global_load_b128 v[63:66], v8, s[2:3] offset:25312
	s_wait_loadcnt 0x0
	v_mul_f64_e32 v[0:1], v[69:70], v[65:66]
	v_mul_f64_e32 v[6:7], v[67:68], v[65:66]
	s_delay_alu instid0(VALU_DEP_2) | instskip(NEXT) | instid1(VALU_DEP_2)
	v_fma_f64 v[65:66], v[67:68], v[63:64], -v[0:1]
	v_fma_f64 v[67:68], v[69:70], v[63:64], v[6:7]
	global_load_b128 v[69:72], v8, s[2:3] offset:2688
	s_wait_loadcnt 0x0
	v_mul_f64_e32 v[0:1], v[75:76], v[71:72]
	v_mul_f64_e32 v[6:7], v[73:74], v[71:72]
	s_delay_alu instid0(VALU_DEP_2) | instskip(NEXT) | instid1(VALU_DEP_2)
	v_fma_f64 v[71:72], v[73:74], v[69:70], -v[0:1]
	v_fma_f64 v[73:74], v[75:76], v[69:70], v[6:7]
	global_load_b128 v[75:78], v8, s[2:3] offset:10528
	s_wait_loadcnt 0x0
	v_mul_f64_e32 v[0:1], v[81:82], v[77:78]
	v_mul_f64_e32 v[6:7], v[79:80], v[77:78]
	s_delay_alu instid0(VALU_DEP_2) | instskip(NEXT) | instid1(VALU_DEP_2)
	v_fma_f64 v[77:78], v[79:80], v[75:76], -v[0:1]
	v_fma_f64 v[79:80], v[81:82], v[75:76], v[6:7]
	global_load_b128 v[81:84], v8, s[2:3] offset:18368
	s_wait_loadcnt 0x0
	v_mul_f64_e32 v[0:1], v[87:88], v[83:84]
	v_mul_f64_e32 v[6:7], v[85:86], v[83:84]
	s_delay_alu instid0(VALU_DEP_2) | instskip(NEXT) | instid1(VALU_DEP_2)
	v_fma_f64 v[83:84], v[85:86], v[81:82], -v[0:1]
	v_fma_f64 v[85:86], v[87:88], v[81:82], v[6:7]
	global_load_b128 v[87:90], v8, s[2:3] offset:26208
	s_wait_loadcnt 0x0
	v_mul_f64_e32 v[0:1], v[93:94], v[89:90]
	v_mul_f64_e32 v[6:7], v[91:92], v[89:90]
	s_delay_alu instid0(VALU_DEP_2) | instskip(NEXT) | instid1(VALU_DEP_2)
	v_fma_f64 v[89:90], v[91:92], v[87:88], -v[0:1]
	v_fma_f64 v[91:92], v[93:94], v[87:88], v[6:7]
	global_load_b128 v[93:96], v8, s[2:3] offset:3584
	s_wait_loadcnt 0x0
	v_mul_f64_e32 v[0:1], v[99:100], v[95:96]
	v_mul_f64_e32 v[6:7], v[97:98], v[95:96]
	s_delay_alu instid0(VALU_DEP_2) | instskip(NEXT) | instid1(VALU_DEP_2)
	v_fma_f64 v[95:96], v[97:98], v[93:94], -v[0:1]
	v_fma_f64 v[97:98], v[99:100], v[93:94], v[6:7]
	global_load_b128 v[99:102], v8, s[2:3] offset:11424
	s_wait_loadcnt 0x0
	v_mul_f64_e32 v[0:1], v[105:106], v[101:102]
	v_mul_f64_e32 v[6:7], v[103:104], v[101:102]
	s_delay_alu instid0(VALU_DEP_2) | instskip(NEXT) | instid1(VALU_DEP_2)
	v_fma_f64 v[101:102], v[103:104], v[99:100], -v[0:1]
	v_fma_f64 v[103:104], v[105:106], v[99:100], v[6:7]
	global_load_b128 v[105:108], v8, s[2:3] offset:19264
	s_wait_loadcnt 0x0
	v_mul_f64_e32 v[0:1], v[111:112], v[107:108]
	v_mul_f64_e32 v[6:7], v[109:110], v[107:108]
	s_delay_alu instid0(VALU_DEP_2) | instskip(NEXT) | instid1(VALU_DEP_2)
	v_fma_f64 v[107:108], v[109:110], v[105:106], -v[0:1]
	v_fma_f64 v[109:110], v[111:112], v[105:106], v[6:7]
	global_load_b128 v[111:114], v8, s[2:3] offset:27104
	s_wait_loadcnt 0x0
	v_mul_f64_e32 v[0:1], v[117:118], v[113:114]
	v_mul_f64_e32 v[6:7], v[115:116], v[113:114]
	s_delay_alu instid0(VALU_DEP_2) | instskip(NEXT) | instid1(VALU_DEP_2)
	v_fma_f64 v[113:114], v[115:116], v[111:112], -v[0:1]
	v_fma_f64 v[115:116], v[117:118], v[111:112], v[6:7]
	global_load_b128 v[117:120], v8, s[2:3] offset:4480
	s_wait_loadcnt 0x0
	v_mul_f64_e32 v[0:1], v[154:155], v[119:120]
	v_mul_f64_e32 v[6:7], v[152:153], v[119:120]
	s_delay_alu instid0(VALU_DEP_2) | instskip(NEXT) | instid1(VALU_DEP_2)
	v_fma_f64 v[119:120], v[152:153], v[117:118], -v[0:1]
	v_fma_f64 v[121:122], v[154:155], v[117:118], v[6:7]
	global_load_b128 v[152:155], v8, s[2:3] offset:12320
	s_wait_loadcnt 0x0
	v_mul_f64_e32 v[0:1], v[158:159], v[154:155]
	v_mul_f64_e32 v[6:7], v[156:157], v[154:155]
	s_delay_alu instid0(VALU_DEP_2) | instskip(NEXT) | instid1(VALU_DEP_2)
	v_fma_f64 v[154:155], v[156:157], v[152:153], -v[0:1]
	v_fma_f64 v[156:157], v[158:159], v[152:153], v[6:7]
	v_mul_f64_e32 v[0:1], v[250:251], v[246:247]
	v_mul_f64_e32 v[6:7], v[248:249], v[246:247]
	s_delay_alu instid0(VALU_DEP_2) | instskip(NEXT) | instid1(VALU_DEP_2)
	v_fma_f64 v[246:247], v[248:249], v[244:245], -v[0:1]
	v_fma_f64 v[248:249], v[250:251], v[244:245], v[6:7]
	global_load_b128 v[250:253], v8, s[2:3] offset:28000
	s_wait_loadcnt 0x0
	v_mul_f64_e32 v[0:1], v[125:126], v[252:253]
	v_mul_f64_e32 v[6:7], v[123:124], v[252:253]
	s_delay_alu instid0(VALU_DEP_2) | instskip(NEXT) | instid1(VALU_DEP_2)
	v_fma_f64 v[123:124], v[123:124], v[250:251], -v[0:1]
	v_fma_f64 v[125:126], v[125:126], v[250:251], v[6:7]
	global_load_b128 v[250:253], v8, s[2:3] offset:5376
	s_wait_loadcnt 0x0
	;; [unrolled: 7-line block ×9, first 2 shown]
	v_mul_f64_e32 v[0:1], v[218:219], v[252:253]
	v_mul_f64_e32 v[6:7], v[216:217], v[252:253]
	s_delay_alu instid0(VALU_DEP_2) | instskip(NEXT) | instid1(VALU_DEP_2)
	v_fma_f64 v[216:217], v[216:217], v[250:251], -v[0:1]
	v_fma_f64 v[218:219], v[218:219], v[250:251], v[6:7]
	ds_store_b128 v176, v[240:243]
	ds_store_b128 v176, v[23:26] offset:896
	ds_store_b128 v176, v[2:5] offset:7840
	;; [unrolled: 1-line block ×31, first 2 shown]
	s_and_saveexec_b32 s1, vcc_lo
	s_cbranch_execz .LBB0_13
; %bb.12:
	s_wait_alu 0xfffe
	v_add_co_u32 v12, s2, s2, v8
	s_wait_alu 0xf1ff
	v_add_co_ci_u32_e64 v13, null, s3, 0, s2
	s_clause 0x3
	global_load_b128 v[0:3], v[12:13], off offset:7168
	global_load_b128 v[4:7], v[12:13], off offset:15008
	;; [unrolled: 1-line block ×4, first 2 shown]
	ds_load_b128 v[16:19], v176 offset:7168
	ds_load_b128 v[20:23], v176 offset:15008
	;; [unrolled: 1-line block ×4, first 2 shown]
	s_wait_loadcnt_dscnt 0x303
	v_mul_f64_e32 v[32:33], v[18:19], v[2:3]
	v_mul_f64_e32 v[2:3], v[16:17], v[2:3]
	s_wait_loadcnt_dscnt 0x202
	v_mul_f64_e32 v[34:35], v[22:23], v[6:7]
	v_mul_f64_e32 v[6:7], v[20:21], v[6:7]
	;; [unrolled: 3-line block ×4, first 2 shown]
	v_fma_f64 v[14:15], v[16:17], v[0:1], -v[32:33]
	v_fma_f64 v[16:17], v[18:19], v[0:1], v[2:3]
	v_fma_f64 v[0:1], v[20:21], v[4:5], -v[34:35]
	v_fma_f64 v[2:3], v[22:23], v[4:5], v[6:7]
	;; [unrolled: 2-line block ×4, first 2 shown]
	ds_store_b128 v176, v[14:17] offset:7168
	ds_store_b128 v176, v[0:3] offset:15008
	;; [unrolled: 1-line block ×4, first 2 shown]
.LBB0_13:
	s_wait_alu 0xfffe
	s_or_b32 exec_lo, exec_lo, s1
	global_wb scope:SCOPE_SE
	s_wait_dscnt 0x0
	s_barrier_signal -1
	s_barrier_wait -1
	global_inv scope:SCOPE_SE
	ds_load_b128 v[96:99], v176
	ds_load_b128 v[80:83], v176 offset:896
	ds_load_b128 v[100:103], v176 offset:7840
	ds_load_b128 v[84:87], v176 offset:8736
	ds_load_b128 v[104:107], v176 offset:15680
	ds_load_b128 v[88:91], v176 offset:16576
	ds_load_b128 v[108:111], v176 offset:23520
	ds_load_b128 v[92:95], v176 offset:24416
	ds_load_b128 v[64:67], v176 offset:1792
	ds_load_b128 v[240:243], v176 offset:2688
	ds_load_b128 v[68:71], v176 offset:9632
	ds_load_b128 v[244:247], v176 offset:10528
	ds_load_b128 v[72:75], v176 offset:17472
	ds_load_b128 v[24:27], v176 offset:18368
	ds_load_b128 v[76:79], v176 offset:25312
	ds_load_b128 v[28:31], v176 offset:26208
	ds_load_b128 v[248:251], v176 offset:3584
	ds_load_b128 v[252:255], v176 offset:4480
	ds_load_b128 v[4:7], v176 offset:11424
	ds_load_b128 v[0:3], v176 offset:12320
	ds_load_b128 v[40:43], v176 offset:19264
	ds_load_b128 v[32:35], v176 offset:20160
	ds_load_b128 v[44:47], v176 offset:27104
	ds_load_b128 v[36:39], v176 offset:28000
	ds_load_b128 v[8:11], v176 offset:5376
	ds_load_b128 v[12:15], v176 offset:6272
	ds_load_b128 v[20:23], v176 offset:13216
	ds_load_b128 v[16:19], v176 offset:14112
	ds_load_b128 v[56:59], v176 offset:21056
	ds_load_b128 v[48:51], v176 offset:21952
	ds_load_b128 v[60:63], v176 offset:28896
	ds_load_b128 v[52:55], v176 offset:29792
	s_and_saveexec_b32 s1, vcc_lo
	s_cbranch_execz .LBB0_15
; %bb.14:
	ds_load_b128 v[228:231], v176 offset:7168
	ds_load_b128 v[232:235], v176 offset:15008
	;; [unrolled: 1-line block ×4, first 2 shown]
	s_wait_dscnt 0x0
	scratch_store_b128 off, v[112:115], off offset:28 ; 16-byte Folded Spill
.LBB0_15:
	s_wait_alu 0xfffe
	s_or_b32 exec_lo, exec_lo, s1
	global_wb scope:SCOPE_SE
	s_wait_storecnt_dscnt 0x0
	s_barrier_signal -1
	s_barrier_wait -1
	global_inv scope:SCOPE_SE
	scratch_load_b32 v116, off, off offset:568 th:TH_LOAD_LU ; 4-byte Folded Reload
	v_add_f64_e64 v[108:109], v[100:101], -v[108:109]
	v_add_f64_e64 v[110:111], v[102:103], -v[110:111]
	v_add_f64_e64 v[104:105], v[96:97], -v[104:105]
	v_add_f64_e64 v[106:107], v[98:99], -v[106:107]
	v_add_f64_e64 v[88:89], v[80:81], -v[88:89]
	v_add_f64_e64 v[92:93], v[84:85], -v[92:93]
	v_add_f64_e64 v[90:91], v[82:83], -v[90:91]
	v_add_f64_e64 v[94:95], v[86:87], -v[94:95]
	v_add_f64_e64 v[72:73], v[64:65], -v[72:73]
	v_add_f64_e64 v[74:75], v[66:67], -v[74:75]
	v_add_f64_e64 v[76:77], v[68:69], -v[76:77]
	v_add_f64_e64 v[78:79], v[70:71], -v[78:79]
	v_fma_f64 v[112:113], v[100:101], 2.0, -v[108:109]
	v_fma_f64 v[114:115], v[102:103], 2.0, -v[110:111]
	v_add_f64_e32 v[100:101], v[104:105], v[110:111]
	v_add_f64_e64 v[102:103], v[106:107], -v[108:109]
	v_fma_f64 v[108:109], v[96:97], 2.0, -v[104:105]
	v_fma_f64 v[110:111], v[98:99], 2.0, -v[106:107]
	s_delay_alu instid0(VALU_DEP_4) | instskip(NEXT) | instid1(VALU_DEP_4)
	v_fma_f64 v[96:97], v[104:105], 2.0, -v[100:101]
	v_fma_f64 v[98:99], v[106:107], 2.0, -v[102:103]
	s_wait_loadcnt 0x0
	ds_store_b128 v116, v[100:103] offset:48
	v_add_f64_e64 v[100:101], v[108:109], -v[112:113]
	v_add_f64_e64 v[102:103], v[110:111], -v[114:115]
	s_delay_alu instid0(VALU_DEP_2) | instskip(NEXT) | instid1(VALU_DEP_2)
	v_fma_f64 v[104:105], v[108:109], 2.0, -v[100:101]
	v_fma_f64 v[106:107], v[110:111], 2.0, -v[102:103]
	ds_store_b128 v116, v[100:103] offset:32
	ds_store_b128 v116, v[96:99] offset:16
	ds_store_b128 v116, v[104:107]
	v_fma_f64 v[96:97], v[80:81], 2.0, -v[88:89]
	v_fma_f64 v[80:81], v[84:85], 2.0, -v[92:93]
	;; [unrolled: 1-line block ×4, first 2 shown]
	s_delay_alu instid0(VALU_DEP_3) | instskip(NEXT) | instid1(VALU_DEP_2)
	v_add_f64_e64 v[80:81], v[96:97], -v[80:81]
	v_add_f64_e64 v[82:83], v[98:99], -v[82:83]
	s_delay_alu instid0(VALU_DEP_2)
	v_fma_f64 v[84:85], v[96:97], 2.0, -v[80:81]
	scratch_load_b32 v96, off, off offset:572 th:TH_LOAD_LU ; 4-byte Folded Reload
	v_fma_f64 v[86:87], v[98:99], 2.0, -v[82:83]
	s_wait_loadcnt 0x0
	ds_store_b128 v96, v[84:87]
	v_add_f64_e32 v[84:85], v[88:89], v[94:95]
	v_add_f64_e64 v[86:87], v[90:91], -v[92:93]
	s_delay_alu instid0(VALU_DEP_2) | instskip(NEXT) | instid1(VALU_DEP_2)
	v_fma_f64 v[88:89], v[88:89], 2.0, -v[84:85]
	v_fma_f64 v[90:91], v[90:91], 2.0, -v[86:87]
	ds_store_b128 v96, v[88:91] offset:16
	ds_store_b128 v96, v[80:83] offset:32
	;; [unrolled: 1-line block ×3, first 2 shown]
	scratch_load_b32 v100, off, off offset:564 th:TH_LOAD_LU ; 4-byte Folded Reload
	v_fma_f64 v[80:81], v[64:65], 2.0, -v[72:73]
	v_fma_f64 v[82:83], v[66:67], 2.0, -v[74:75]
	;; [unrolled: 1-line block ×4, first 2 shown]
	v_add_f64_e64 v[88:89], v[12:13], -v[48:49]
	v_add_f64_e64 v[90:91], v[14:15], -v[50:51]
	s_delay_alu instid0(VALU_DEP_4) | instskip(NEXT) | instid1(VALU_DEP_4)
	v_add_f64_e64 v[64:65], v[80:81], -v[64:65]
	v_add_f64_e64 v[66:67], v[82:83], -v[66:67]
	s_delay_alu instid0(VALU_DEP_4) | instskip(NEXT) | instid1(VALU_DEP_4)
	v_fma_f64 v[96:97], v[12:13], 2.0, -v[88:89]
	v_fma_f64 v[98:99], v[14:15], 2.0, -v[90:91]
	s_delay_alu instid0(VALU_DEP_4) | instskip(NEXT) | instid1(VALU_DEP_4)
	v_fma_f64 v[68:69], v[80:81], 2.0, -v[64:65]
	v_fma_f64 v[70:71], v[82:83], 2.0, -v[66:67]
	v_add_f64_e64 v[80:81], v[8:9], -v[56:57]
	v_add_f64_e64 v[82:83], v[10:11], -v[58:59]
	s_delay_alu instid0(VALU_DEP_2) | instskip(NEXT) | instid1(VALU_DEP_2)
	v_fma_f64 v[92:93], v[8:9], 2.0, -v[80:81]
	v_fma_f64 v[94:95], v[10:11], 2.0, -v[82:83]
	s_wait_loadcnt 0x0
	ds_store_b128 v100, v[68:71]
	v_add_f64_e32 v[68:69], v[72:73], v[78:79]
	v_add_f64_e64 v[70:71], v[74:75], -v[76:77]
	v_add_f64_e64 v[76:77], v[252:253], -v[32:33]
	;; [unrolled: 1-line block ×7, first 2 shown]
	v_fma_f64 v[72:73], v[72:73], 2.0, -v[68:69]
	v_fma_f64 v[74:75], v[74:75], 2.0, -v[70:71]
	;; [unrolled: 1-line block ×6, first 2 shown]
	ds_store_b128 v100, v[72:75] offset:16
	ds_store_b128 v100, v[64:67] offset:32
	v_add_f64_e64 v[64:65], v[240:241], -v[24:25]
	v_add_f64_e64 v[66:67], v[242:243], -v[26:27]
	;; [unrolled: 1-line block ×10, first 2 shown]
	ds_store_b128 v100, v[68:71] offset:48
	v_fma_f64 v[52:53], v[20:21], 2.0, -v[38:39]
	v_fma_f64 v[54:55], v[22:23], 2.0, -v[36:37]
	v_add_f64_e32 v[36:37], v[80:81], v[36:37]
	v_add_f64_e64 v[38:39], v[82:83], -v[38:39]
	scratch_load_b32 v68, off, off offset:580 th:TH_LOAD_LU ; 4-byte Folded Reload
	v_fma_f64 v[48:49], v[240:241], 2.0, -v[64:65]
	v_fma_f64 v[50:51], v[242:243], 2.0, -v[66:67]
	;; [unrolled: 1-line block ×10, first 2 shown]
	v_add_f64_e32 v[12:13], v[64:65], v[26:27]
	v_add_f64_e64 v[14:15], v[66:67], -v[24:25]
	v_add_f64_e32 v[20:21], v[72:73], v[30:31]
	v_add_f64_e64 v[22:23], v[74:75], -v[28:29]
	;; [unrolled: 2-line block ×3, first 2 shown]
	v_add_f64_e64 v[32:33], v[92:93], -v[52:53]
	v_add_f64_e64 v[34:35], v[94:95], -v[54:55]
	;; [unrolled: 1-line block ×4, first 2 shown]
	v_fma_f64 v[80:81], v[80:81], 2.0, -v[36:37]
	v_fma_f64 v[82:83], v[82:83], 2.0, -v[38:39]
	v_add_f64_e64 v[0:1], v[228:229], -v[236:237]
	v_add_f64_e64 v[2:3], v[230:231], -v[238:239]
	v_add_f64_e32 v[44:45], v[88:89], v[44:45]
	v_add_f64_e64 v[46:47], v[90:91], -v[46:47]
	v_add_f64_e64 v[8:9], v[48:49], -v[40:41]
	;; [unrolled: 1-line block ×5, first 2 shown]
	scratch_load_b128 v[4:7], off, off offset:28 th:TH_LOAD_LU ; 16-byte Folded Reload
	v_add_f64_e64 v[40:41], v[96:97], -v[60:61]
	v_fma_f64 v[52:53], v[64:65], 2.0, -v[12:13]
	v_fma_f64 v[54:55], v[66:67], 2.0, -v[14:15]
	v_add_f64_e64 v[42:43], v[98:99], -v[62:63]
	v_fma_f64 v[60:61], v[72:73], 2.0, -v[20:21]
	v_fma_f64 v[62:63], v[74:75], 2.0, -v[22:23]
	;; [unrolled: 1-line block ×12, first 2 shown]
	s_wait_loadcnt 0x1
	ds_store_b128 v68, v[48:51]
	ds_store_b128 v68, v[52:55] offset:16
	ds_store_b128 v68, v[8:11] offset:32
	;; [unrolled: 1-line block ×3, first 2 shown]
	v_fma_f64 v[56:57], v[56:57], 2.0, -v[16:17]
	v_fma_f64 v[58:59], v[58:59], 2.0, -v[18:19]
	;; [unrolled: 1-line block ×4, first 2 shown]
	scratch_load_b32 v8, off, off offset:20 th:TH_LOAD_LU ; 4-byte Folded Reload
	s_wait_loadcnt 0x0
	ds_store_b128 v8, v[56:59]
	ds_store_b128 v8, v[60:63] offset:16
	ds_store_b128 v8, v[16:19] offset:32
	;; [unrolled: 1-line block ×3, first 2 shown]
	v_add_f64_e64 v[6:7], v[234:235], -v[6:7]
	v_add_f64_e64 v[4:5], v[232:233], -v[4:5]
	scratch_load_b32 v8, off, off offset:584 th:TH_LOAD_LU ; 4-byte Folded Reload
	s_wait_loadcnt 0x0
	ds_store_b128 v8, v[64:67]
	ds_store_b128 v8, v[72:75] offset:16
	ds_store_b128 v8, v[24:27] offset:32
	;; [unrolled: 1-line block ×3, first 2 shown]
	v_add_f64_e32 v[224:225], v[0:1], v[6:7]
	v_add_f64_e64 v[226:227], v[2:3], -v[4:5]
	scratch_load_b32 v8, off, off offset:24 th:TH_LOAD_LU ; 4-byte Folded Reload
	s_wait_loadcnt 0x0
	ds_store_b128 v8, v[76:79]
	ds_store_b128 v8, v[80:83] offset:16
	ds_store_b128 v8, v[32:35] offset:32
	;; [unrolled: 1-line block ×3, first 2 shown]
	scratch_load_b32 v8, off, off offset:588 th:TH_LOAD_LU ; 4-byte Folded Reload
	s_wait_loadcnt 0x0
	ds_store_b128 v8, v[84:87]
	ds_store_b128 v8, v[88:91] offset:16
	ds_store_b128 v8, v[40:43] offset:32
	;; [unrolled: 1-line block ×3, first 2 shown]
	s_and_saveexec_b32 s1, vcc_lo
	s_cbranch_execz .LBB0_17
; %bb.16:
	v_fma_f64 v[8:9], v[230:231], 2.0, -v[2:3]
	v_fma_f64 v[6:7], v[234:235], 2.0, -v[6:7]
	;; [unrolled: 1-line block ×6, first 2 shown]
	v_add_f64_e64 v[6:7], v[8:9], -v[6:7]
	s_delay_alu instid0(VALU_DEP_4) | instskip(NEXT) | instid1(VALU_DEP_2)
	v_add_f64_e64 v[4:5], v[12:13], -v[4:5]
	v_fma_f64 v[10:11], v[8:9], 2.0, -v[6:7]
	s_delay_alu instid0(VALU_DEP_2)
	v_fma_f64 v[8:9], v[12:13], 2.0, -v[4:5]
	scratch_load_b32 v12, off, off offset:576 th:TH_LOAD_LU ; 4-byte Folded Reload
	s_wait_loadcnt 0x0
	ds_store_b128 v12, v[0:3] offset:16
	ds_store_b128 v12, v[4:7] offset:32
	ds_store_b128 v12, v[8:11]
	ds_store_b128 v12, v[224:227] offset:48
.LBB0_17:
	s_wait_alu 0xfffe
	s_or_b32 exec_lo, exec_lo, s1
	global_wb scope:SCOPE_SE
	s_wait_dscnt 0x0
	s_barrier_signal -1
	s_barrier_wait -1
	global_inv scope:SCOPE_SE
	ds_load_b128 v[0:3], v176 offset:4480
	ds_load_b128 v[4:7], v176 offset:5376
	;; [unrolled: 1-line block ×11, first 2 shown]
	s_mov_b32 s14, 0xe976ee23
	s_mov_b32 s15, 0x3fe11646
	;; [unrolled: 1-line block ×11, first 2 shown]
	s_wait_dscnt 0xa
	v_mul_f64_e32 v[16:17], v[150:151], v[2:3]
	v_mul_f64_e32 v[18:19], v[150:151], v[0:1]
	s_wait_dscnt 0x8
	v_mul_f64_e32 v[56:57], v[150:151], v[8:9]
	s_wait_dscnt 0x7
	v_mul_f64_e32 v[62:63], v[150:151], v[12:13]
	v_mul_f64_e32 v[32:33], v[150:151], v[6:7]
	;; [unrolled: 1-line block ×5, first 2 shown]
	s_wait_dscnt 0x6
	v_mul_f64_e32 v[66:67], v[150:151], v[20:21]
	v_mul_f64_e32 v[64:65], v[150:151], v[22:23]
	s_wait_dscnt 0x5
	v_mul_f64_e32 v[68:69], v[146:147], v[26:27]
	v_mul_f64_e32 v[70:71], v[146:147], v[24:25]
	;; [unrolled: 3-line block ×5, first 2 shown]
	v_mul_f64_e32 v[78:79], v[146:147], v[36:37]
	s_mov_b32 s20, 0xb247c609
	s_mov_b32 s9, 0x3fac98ee
	;; [unrolled: 1-line block ×7, first 2 shown]
	s_wait_alu 0xfffe
	s_mov_b32 s26, s20
	s_mov_b32 s24, s16
	v_fma_f64 v[100:101], v[148:149], v[0:1], v[16:17]
	v_fma_f64 v[102:103], v[148:149], v[2:3], -v[18:19]
	ds_load_b128 v[0:3], v176 offset:14336
	v_fma_f64 v[18:19], v[148:149], v[10:11], -v[56:57]
	v_fma_f64 v[10:11], v[148:149], v[14:15], -v[62:63]
	v_mul_f64_e32 v[14:15], v[146:147], v[48:49]
	v_fma_f64 v[34:35], v[148:149], v[4:5], v[32:33]
	v_fma_f64 v[32:33], v[148:149], v[6:7], -v[44:45]
	v_fma_f64 v[16:17], v[148:149], v[8:9], v[46:47]
	v_fma_f64 v[8:9], v[148:149], v[12:13], v[60:61]
	s_wait_dscnt 0x1
	v_mul_f64_e32 v[60:61], v[142:143], v[54:55]
	v_fma_f64 v[6:7], v[148:149], v[22:23], -v[66:67]
	v_mul_f64_e32 v[66:67], v[142:143], v[52:53]
	ds_load_b128 v[56:59], v176 offset:15232
	v_fma_f64 v[4:5], v[148:149], v[20:21], v[64:65]
	ds_load_b128 v[20:23], v176 offset:16128
	v_fma_f64 v[104:105], v[144:145], v[24:25], v[68:69]
	v_fma_f64 v[106:107], v[144:145], v[26:27], -v[70:71]
	ds_load_b128 v[24:27], v176 offset:17024
	v_fma_f64 v[64:65], v[144:145], v[28:29], v[72:73]
	v_fma_f64 v[62:63], v[144:145], v[30:31], -v[74:75]
	v_fma_f64 v[28:29], v[144:145], v[40:41], v[80:81]
	s_wait_dscnt 0x3
	v_mul_f64_e32 v[68:69], v[142:143], v[2:3]
	v_mul_f64_e32 v[70:71], v[142:143], v[0:1]
	v_fma_f64 v[30:31], v[144:145], v[42:43], -v[82:83]
	v_fma_f64 v[12:13], v[144:145], v[48:49], v[84:85]
	v_fma_f64 v[44:45], v[144:145], v[36:37], v[76:77]
	v_fma_f64 v[46:47], v[144:145], v[38:39], -v[78:79]
	s_wait_dscnt 0x2
	v_mul_f64_e32 v[72:73], v[142:143], v[58:59]
	v_mul_f64_e32 v[36:37], v[142:143], v[56:57]
	s_wait_dscnt 0x1
	v_mul_f64_e32 v[38:39], v[142:143], v[22:23]
	v_mul_f64_e32 v[74:75], v[142:143], v[20:21]
	v_fma_f64 v[14:15], v[144:145], v[50:51], -v[14:15]
	ds_load_b128 v[40:43], v176 offset:17920
	ds_load_b128 v[48:51], v176 offset:18816
	v_fma_f64 v[108:109], v[140:141], v[52:53], v[60:61]
	s_wait_dscnt 0x2
	v_mul_f64_e32 v[60:61], v[142:143], v[26:27]
	v_fma_f64 v[110:111], v[140:141], v[54:55], -v[66:67]
	v_mul_f64_e32 v[66:67], v[142:143], v[24:25]
	v_fma_f64 v[78:79], v[140:141], v[0:1], v[68:69]
	v_fma_f64 v[76:77], v[140:141], v[2:3], -v[70:71]
	ds_load_b128 v[0:3], v176 offset:19712
	s_wait_dscnt 0x2
	v_mul_f64_e32 v[68:69], v[138:139], v[40:41]
	v_mul_f64_e32 v[80:81], v[138:139], v[42:43]
	s_wait_dscnt 0x1
	v_mul_f64_e32 v[70:71], v[138:139], v[50:51]
	v_fma_f64 v[52:53], v[140:141], v[56:57], v[72:73]
	v_fma_f64 v[54:55], v[140:141], v[58:59], -v[36:37]
	v_mul_f64_e32 v[56:57], v[138:139], v[48:49]
	v_fma_f64 v[36:37], v[140:141], v[20:21], v[38:39]
	v_fma_f64 v[38:39], v[140:141], v[22:23], -v[74:75]
	v_fma_f64 v[20:21], v[140:141], v[24:25], v[60:61]
	v_fma_f64 v[22:23], v[140:141], v[26:27], -v[66:67]
	ds_load_b128 v[24:27], v176 offset:20608
	s_wait_dscnt 0x1
	v_mul_f64_e32 v[58:59], v[138:139], v[2:3]
	v_mul_f64_e32 v[60:61], v[138:139], v[0:1]
	v_fma_f64 v[114:115], v[136:137], v[42:43], -v[68:69]
	ds_load_b128 v[66:69], v176 offset:21504
	v_fma_f64 v[112:113], v[136:137], v[40:41], v[80:81]
	v_fma_f64 v[82:83], v[136:137], v[48:49], v[70:71]
	s_wait_dscnt 0x1
	v_mul_f64_e32 v[40:41], v[138:139], v[26:27]
	v_fma_f64 v[80:81], v[136:137], v[50:51], -v[56:57]
	v_mul_f64_e32 v[42:43], v[138:139], v[24:25]
	v_fma_f64 v[56:57], v[136:137], v[0:1], v[58:59]
	v_fma_f64 v[58:59], v[136:137], v[2:3], -v[60:61]
	ds_load_b128 v[0:3], v176 offset:22400
	s_wait_dscnt 0x1
	v_mul_f64_e32 v[48:49], v[138:139], v[68:69]
	v_mul_f64_e32 v[50:51], v[138:139], v[66:67]
	v_add_f64_e32 v[138:139], v[110:111], v[114:115]
	v_add_f64_e64 v[110:111], v[114:115], -v[110:111]
	v_fma_f64 v[40:41], v[136:137], v[24:25], v[40:41]
	v_fma_f64 v[42:43], v[136:137], v[26:27], -v[42:43]
	s_wait_dscnt 0x0
	v_mul_f64_e32 v[60:61], v[134:135], v[2:3]
	v_add_f64_e32 v[154:155], v[54:55], v[58:59]
	v_add_f64_e64 v[54:55], v[58:59], -v[54:55]
	v_fma_f64 v[24:25], v[136:137], v[66:67], v[48:49]
	v_mul_f64_e32 v[66:67], v[134:135], v[0:1]
	v_fma_f64 v[26:27], v[136:137], v[68:69], -v[50:51]
	ds_load_b128 v[48:51], v176 offset:23296
	v_add_f64_e32 v[158:159], v[36:37], v[40:41]
	v_add_f64_e64 v[36:37], v[40:41], -v[36:37]
	v_add_f64_e32 v[179:180], v[38:39], v[42:43]
	v_fma_f64 v[116:117], v[132:133], v[0:1], v[60:61]
	v_add_f64_e64 v[38:39], v[42:43], -v[38:39]
	s_wait_dscnt 0x0
	v_mul_f64_e32 v[0:1], v[134:135], v[50:51]
	v_add_f64_e32 v[188:189], v[20:21], v[24:25]
	v_fma_f64 v[118:119], v[132:133], v[2:3], -v[66:67]
	v_mul_f64_e32 v[2:3], v[134:135], v[48:49]
	v_add_f64_e32 v[200:201], v[22:23], v[26:27]
	v_add_f64_e64 v[22:23], v[26:27], -v[22:23]
	v_add_f64_e64 v[20:21], v[24:25], -v[20:21]
	v_fma_f64 v[86:87], v[132:133], v[48:49], v[0:1]
	v_add_f64_e32 v[136:137], v[106:107], v[118:119]
	v_fma_f64 v[84:85], v[132:133], v[50:51], -v[2:3]
	ds_load_b128 v[0:3], v176 offset:24192
	s_wait_dscnt 0x0
	v_mul_f64_e32 v[48:49], v[134:135], v[2:3]
	s_delay_alu instid0(VALU_DEP_1) | instskip(SKIP_1) | instid1(VALU_DEP_1)
	v_fma_f64 v[68:69], v[132:133], v[0:1], v[48:49]
	v_mul_f64_e32 v[0:1], v[134:135], v[0:1]
	v_fma_f64 v[70:71], v[132:133], v[2:3], -v[0:1]
	ds_load_b128 v[0:3], v176 offset:25088
	s_wait_dscnt 0x0
	v_mul_f64_e32 v[48:49], v[134:135], v[2:3]
	s_delay_alu instid0(VALU_DEP_1) | instskip(SKIP_1) | instid1(VALU_DEP_1)
	v_fma_f64 v[48:49], v[132:133], v[0:1], v[48:49]
	v_mul_f64_e32 v[0:1], v[134:135], v[0:1]
	v_fma_f64 v[50:51], v[132:133], v[2:3], -v[0:1]
	ds_load_b128 v[0:3], v176 offset:25984
	s_wait_dscnt 0x0
	v_mul_f64_e32 v[60:61], v[134:135], v[2:3]
	v_add_f64_e32 v[177:178], v[30:31], v[50:51]
	v_add_f64_e64 v[30:31], v[30:31], -v[50:51]
	s_delay_alu instid0(VALU_DEP_3) | instskip(SKIP_1) | instid1(VALU_DEP_1)
	v_fma_f64 v[60:61], v[132:133], v[0:1], v[60:61]
	v_mul_f64_e32 v[0:1], v[134:135], v[0:1]
	v_fma_f64 v[66:67], v[132:133], v[2:3], -v[0:1]
	ds_load_b128 v[0:3], v176 offset:26880
	s_wait_dscnt 0x0
	v_mul_f64_e32 v[72:73], v[130:131], v[2:3]
	v_add_f64_e32 v[194:195], v[14:15], v[66:67]
	v_add_f64_e64 v[14:15], v[14:15], -v[66:67]
	s_delay_alu instid0(VALU_DEP_3) | instskip(SKIP_1) | instid1(VALU_DEP_2)
	v_fma_f64 v[120:121], v[128:129], v[0:1], v[72:73]
	v_mul_f64_e32 v[0:1], v[130:131], v[0:1]
	v_add_f64_e32 v[124:125], v[100:101], v[120:121]
	s_delay_alu instid0(VALU_DEP_2)
	v_fma_f64 v[122:123], v[128:129], v[2:3], -v[0:1]
	ds_load_b128 v[0:3], v176 offset:27776
	s_wait_dscnt 0x0
	v_mul_f64_e32 v[72:73], v[130:131], v[2:3]
	v_add_f64_e32 v[134:135], v[102:103], v[122:123]
	v_add_f64_e64 v[114:115], v[102:103], -v[122:123]
	s_delay_alu instid0(VALU_DEP_3) | instskip(SKIP_1) | instid1(VALU_DEP_1)
	v_fma_f64 v[98:99], v[128:129], v[0:1], v[72:73]
	v_mul_f64_e32 v[0:1], v[130:131], v[0:1]
	v_fma_f64 v[96:97], v[128:129], v[2:3], -v[0:1]
	ds_load_b128 v[0:3], v176 offset:28672
	s_wait_dscnt 0x0
	v_mul_f64_e32 v[72:73], v[130:131], v[2:3]
	s_delay_alu instid0(VALU_DEP_1) | instskip(SKIP_1) | instid1(VALU_DEP_1)
	v_fma_f64 v[92:93], v[128:129], v[0:1], v[72:73]
	v_mul_f64_e32 v[0:1], v[130:131], v[0:1]
	v_fma_f64 v[94:95], v[128:129], v[2:3], -v[0:1]
	ds_load_b128 v[0:3], v176 offset:29568
	s_wait_dscnt 0x0
	v_mul_f64_e32 v[72:73], v[130:131], v[2:3]
	v_add_f64_e64 v[58:59], v[18:19], -v[94:95]
	s_delay_alu instid0(VALU_DEP_2) | instskip(SKIP_1) | instid1(VALU_DEP_2)
	v_fma_f64 v[88:89], v[128:129], v[0:1], v[72:73]
	v_mul_f64_e32 v[0:1], v[130:131], v[0:1]
	v_add_f64_e64 v[40:41], v[8:9], -v[88:89]
	s_delay_alu instid0(VALU_DEP_2)
	v_fma_f64 v[90:91], v[128:129], v[2:3], -v[0:1]
	ds_load_b128 v[0:3], v176 offset:30464
	s_wait_dscnt 0x0
	v_mul_f64_e32 v[72:73], v[130:131], v[2:3]
	v_add_f64_e32 v[166:167], v[10:11], v[90:91]
	v_add_f64_e64 v[42:43], v[10:11], -v[90:91]
	v_add_f64_e32 v[10:11], v[38:39], v[30:31]
	s_delay_alu instid0(VALU_DEP_4)
	v_fma_f64 v[72:73], v[128:129], v[0:1], v[72:73]
	v_mul_f64_e32 v[0:1], v[130:131], v[0:1]
	v_add_f64_e32 v[130:131], v[108:109], v[112:113]
	v_add_f64_e64 v[108:109], v[112:113], -v[108:109]
	v_add_f64_e64 v[112:113], v[100:101], -v[120:121]
	;; [unrolled: 1-line block ×5, first 2 shown]
	v_fma_f64 v[74:75], v[128:129], v[2:3], -v[0:1]
	v_add_f64_e32 v[128:129], v[104:105], v[116:117]
	v_add_f64_e64 v[104:105], v[104:105], -v[116:117]
	v_add_f64_e64 v[106:107], v[110:111], -v[100:101]
	;; [unrolled: 1-line block ×3, first 2 shown]
	v_add_f64_e32 v[100:101], v[110:111], v[100:101]
	v_add_f64_e32 v[192:193], v[6:7], v[74:75]
	;; [unrolled: 1-line block ×3, first 2 shown]
	v_add_f64_e64 v[102:103], v[108:109], -v[104:105]
	v_add_f64_e64 v[116:117], v[104:105], -v[112:113]
	v_add_f64_e32 v[104:105], v[108:109], v[104:105]
	v_add_f64_e64 v[120:121], v[130:131], -v[128:129]
	v_add_f64_e64 v[122:123], v[128:129], -v[124:125]
	v_mul_f64_e32 v[144:145], s[14:15], v[106:107]
	v_add_f64_e64 v[124:125], v[124:125], -v[130:131]
	v_add_f64_e64 v[128:129], v[138:139], -v[136:137]
	v_add_f64_e32 v[148:149], v[100:101], v[114:115]
	v_add_f64_e64 v[24:25], v[6:7], -v[74:75]
	v_add_f64_e32 v[6:7], v[22:23], v[14:15]
	;; [unrolled: 2-line block ×3, first 2 shown]
	v_add_f64_e32 v[0:1], v[136:137], v[134:135]
	v_mul_f64_e32 v[142:143], s[14:15], v[102:103]
	v_add_f64_e32 v[146:147], v[104:105], v[112:113]
	v_add_f64_e64 v[130:131], v[134:135], -v[138:139]
	v_add_f64_e64 v[136:137], v[136:137], -v[134:135]
	;; [unrolled: 1-line block ×3, first 2 shown]
	v_mul_f64_e32 v[108:109], s[12:13], v[116:117]
	v_mul_f64_e32 v[100:101], s[8:9], v[120:121]
	;; [unrolled: 1-line block ×3, first 2 shown]
	v_add_f64_e32 v[140:141], v[138:139], v[0:1]
	v_fma_f64 v[104:105], v[116:117], s[12:13], -v[142:143]
	ds_load_b128 v[0:3], v176
	v_add_f64_e64 v[138:139], v[114:115], -v[110:111]
	v_mul_f64_e32 v[110:111], s[12:13], v[118:119]
	v_mul_f64_e32 v[116:117], s[22:23], v[124:125]
	s_wait_alu 0xfffe
	v_fma_f64 v[108:109], v[134:135], s[26:27], -v[108:109]
	v_fma_f64 v[100:101], v[122:123], s[16:17], -v[100:101]
	;; [unrolled: 1-line block ×3, first 2 shown]
	s_wait_dscnt 0x0
	v_add_f64_e32 v[0:1], v[0:1], v[132:133]
	v_add_f64_e32 v[2:3], v[2:3], v[140:141]
	v_fma_f64 v[106:107], v[146:147], s[2:3], v[104:105]
	v_fma_f64 v[104:105], v[118:119], s[12:13], -v[144:145]
	v_mul_f64_e32 v[118:119], s[22:23], v[130:131]
	v_fma_f64 v[110:111], v[138:139], s[26:27], -v[110:111]
	v_fma_f64 v[112:113], v[122:123], s[24:25], -v[116:117]
	v_fma_f64 v[122:123], v[146:147], s[2:3], v[108:109]
	v_fma_f64 v[116:117], v[120:121], s[8:9], v[116:117]
	;; [unrolled: 1-line block ×5, first 2 shown]
	v_fma_f64 v[114:115], v[136:137], s[24:25], -v[118:119]
	v_fma_f64 v[124:125], v[148:149], s[2:3], v[110:111]
	v_fma_f64 v[118:119], v[128:129], s[8:9], v[118:119]
	v_add_f64_e32 v[112:113], v[112:113], v[132:133]
	v_add_f64_e32 v[150:151], v[100:101], v[132:133]
	;; [unrolled: 1-line block ×6, first 2 shown]
	v_add_f64_e64 v[112:113], v[112:113], -v[124:125]
	v_fma_f64 v[124:125], v[138:139], s[20:21], v[144:145]
	v_add_f64_e64 v[100:101], v[150:151], -v[104:105]
	v_add_f64_e32 v[104:105], v[104:105], v[150:151]
	v_add_f64_e32 v[150:151], v[18:19], v[94:95]
	;; [unrolled: 1-line block ×3, first 2 shown]
	v_add_f64_e64 v[106:107], v[152:153], -v[106:107]
	v_add_f64_e32 v[152:153], v[46:47], v[70:71]
	v_add_f64_e64 v[110:111], v[114:115], -v[122:123]
	v_add_f64_e32 v[114:115], v[122:123], v[114:115]
	v_fma_f64 v[122:123], v[134:135], s[20:21], v[142:143]
	v_add_f64_e64 v[46:47], v[46:47], -v[70:71]
	v_fma_f64 v[120:121], v[148:149], s[2:3], v[124:125]
	v_add_f64_e32 v[124:125], v[116:117], v[132:133]
	v_add_f64_e64 v[94:95], v[152:153], -v[150:151]
	v_fma_f64 v[122:123], v[146:147], s[2:3], v[122:123]
	v_add_f64_e32 v[146:147], v[52:53], v[56:57]
	v_add_f64_e64 v[52:53], v[56:57], -v[52:53]
	v_add_f64_e64 v[56:57], v[16:17], -v[92:93]
	v_add_f64_e32 v[18:19], v[54:55], v[46:47]
	v_add_f64_e32 v[116:117], v[120:121], v[124:125]
	v_add_f64_e64 v[120:121], v[124:125], -v[120:121]
	v_add_f64_e64 v[118:119], v[128:129], -v[122:123]
	v_add_f64_e32 v[122:123], v[122:123], v[128:129]
	ds_load_b128 v[128:131], v176 offset:3584
	ds_load_b128 v[132:135], v176 offset:896
	;; [unrolled: 1-line block ×4, first 2 shown]
	global_wb scope:SCOPE_SE
	s_wait_dscnt 0x0
	s_barrier_signal -1
	s_barrier_wait -1
	global_inv scope:SCOPE_SE
	scratch_load_b32 v124, off, off offset:592 th:TH_LOAD_LU ; 4-byte Folded Reload
	s_wait_loadcnt 0x0
	ds_store_b128 v124, v[0:3]
	ds_store_b128 v124, v[116:119] offset:64
	ds_store_b128 v124, v[108:111] offset:128
	;; [unrolled: 1-line block ×6, first 2 shown]
	v_add_f64_e32 v[112:113], v[34:35], v[98:99]
	v_add_f64_e32 v[114:115], v[64:65], v[86:87]
	;; [unrolled: 1-line block ×6, first 2 shown]
	v_add_f64_e64 v[64:65], v[64:65], -v[86:87]
	v_add_f64_e64 v[78:79], v[82:83], -v[78:79]
	;; [unrolled: 1-line block ×6, first 2 shown]
	v_add_f64_e32 v[0:1], v[114:115], v[112:113]
	v_add_f64_e64 v[84:85], v[116:117], -v[114:115]
	v_add_f64_e64 v[86:87], v[114:115], -v[112:113]
	;; [unrolled: 1-line block ×7, first 2 shown]
	v_add_f64_e32 v[62:63], v[78:79], v[64:65]
	v_add_f64_e64 v[64:65], v[76:77], -v[34:35]
	v_add_f64_e32 v[118:119], v[116:117], v[0:1]
	v_add_f64_e32 v[0:1], v[122:123], v[120:121]
	v_add_f64_e64 v[116:117], v[120:121], -v[124:125]
	v_add_f64_e32 v[122:123], v[76:77], v[34:35]
	v_add_f64_e64 v[120:121], v[82:83], -v[78:79]
	v_mul_f64_e32 v[112:113], s[22:23], v[112:113]
	v_mul_f64_e32 v[78:79], s[12:13], v[114:115]
	v_add_f64_e32 v[206:207], v[62:63], v[82:83]
	v_mul_f64_e32 v[204:205], s[14:15], v[64:65]
	v_add_f64_e32 v[144:145], v[124:125], v[0:1]
	v_add_f64_e32 v[0:1], v[132:133], v[118:119]
	;; [unrolled: 1-line block ×3, first 2 shown]
	v_add_f64_e64 v[124:125], v[80:81], -v[76:77]
	v_mul_f64_e32 v[116:117], s[22:23], v[116:117]
	v_add_f64_e32 v[122:123], v[122:123], v[80:81]
	v_fma_f64 v[78:79], v[120:121], s[26:27], -v[78:79]
	v_add_f64_e64 v[16:17], v[54:55], -v[46:47]
	v_add_f64_e64 v[92:93], v[154:155], -v[152:153]
	v_add_f64_e32 v[2:3], v[134:135], v[144:145]
	v_add_f64_e32 v[134:135], v[44:45], v[68:69]
	v_fma_f64 v[118:119], v[118:119], s[18:19], v[0:1]
	v_add_f64_e64 v[44:45], v[44:45], -v[68:69]
	v_fma_f64 v[82:83], v[98:99], s[24:25], -v[116:117]
	v_fma_f64 v[144:145], v[144:145], s[18:19], v[2:3]
	v_add_f64_e32 v[100:101], v[134:135], v[132:133]
	v_add_f64_e64 v[68:69], v[146:147], -v[134:135]
	v_add_f64_e64 v[70:71], v[134:135], -v[132:133]
	s_delay_alu instid0(VALU_DEP_4) | instskip(NEXT) | instid1(VALU_DEP_4)
	v_add_f64_e32 v[82:83], v[82:83], v[144:145]
	v_add_f64_e32 v[148:149], v[146:147], v[100:101]
	;; [unrolled: 1-line block ×3, first 2 shown]
	s_delay_alu instid0(VALU_DEP_1) | instskip(NEXT) | instid1(VALU_DEP_3)
	v_add_f64_e32 v[156:157], v[154:155], v[100:101]
	v_add_f64_e32 v[100:101], v[136:137], v[148:149]
	v_add_f64_e32 v[136:137], v[8:9], v[88:89]
	v_add_f64_e64 v[8:9], v[38:39], -v[30:31]
	v_add_f64_e64 v[88:89], v[179:180], -v[177:178]
	v_add_f64_e32 v[102:103], v[138:139], v[156:157]
	v_add_f64_e32 v[138:139], v[28:29], v[48:49]
	v_add_f64_e64 v[28:29], v[28:29], -v[48:49]
	s_delay_alu instid0(VALU_DEP_2) | instskip(SKIP_2) | instid1(VALU_DEP_3)
	v_add_f64_e32 v[104:105], v[138:139], v[136:137]
	v_add_f64_e64 v[48:49], v[158:159], -v[138:139]
	v_add_f64_e64 v[50:51], v[138:139], -v[136:137]
	v_add_f64_e32 v[164:165], v[158:159], v[104:105]
	v_add_f64_e32 v[104:105], v[177:178], v[166:167]
	s_delay_alu instid0(VALU_DEP_1) | instskip(NEXT) | instid1(VALU_DEP_3)
	v_add_f64_e32 v[181:182], v[179:180], v[104:105]
	v_add_f64_e32 v[104:105], v[140:141], v[164:165]
	;; [unrolled: 1-line block ×3, first 2 shown]
	v_add_f64_e64 v[4:5], v[22:23], -v[14:15]
	v_add_f64_e64 v[72:73], v[200:201], -v[194:195]
	v_add_f64_e32 v[106:107], v[142:143], v[181:182]
	v_add_f64_e32 v[142:143], v[12:13], v[60:61]
	v_add_f64_e64 v[12:13], v[12:13], -v[60:61]
	s_delay_alu instid0(VALU_DEP_2) | instskip(SKIP_2) | instid1(VALU_DEP_3)
	v_add_f64_e32 v[108:109], v[142:143], v[140:141]
	v_add_f64_e64 v[60:61], v[188:189], -v[142:143]
	v_add_f64_e64 v[66:67], v[142:143], -v[140:141]
	v_add_f64_e32 v[190:191], v[188:189], v[108:109]
	v_add_f64_e32 v[108:109], v[194:195], v[192:193]
	s_delay_alu instid0(VALU_DEP_1) | instskip(NEXT) | instid1(VALU_DEP_3)
	v_add_f64_e32 v[202:203], v[200:201], v[108:109]
	v_add_f64_e32 v[108:109], v[128:129], v[190:191]
	v_add_f64_e64 v[128:129], v[34:35], -v[80:81]
	v_mul_f64_e32 v[34:35], s[8:9], v[96:97]
	v_fma_f64 v[80:81], v[86:87], s[24:25], -v[112:113]
	v_add_f64_e32 v[110:111], v[130:131], v[202:203]
	v_mul_f64_e32 v[130:131], s[14:15], v[32:33]
	v_mul_f64_e32 v[76:77], s[12:13], v[128:129]
	;; [unrolled: 1-line block ×3, first 2 shown]
	v_fma_f64 v[34:35], v[98:99], s[16:17], -v[34:35]
	v_add_f64_e32 v[80:81], v[80:81], v[118:119]
	v_fma_f64 v[98:99], v[206:207], s[2:3], v[78:79]
	v_fma_f64 v[84:85], v[84:85], s[8:9], v[112:113]
	v_fma_f64 v[62:63], v[114:115], s[12:13], -v[130:131]
	v_fma_f64 v[76:77], v[124:125], s[26:27], -v[76:77]
	;; [unrolled: 1-line block ×3, first 2 shown]
	v_add_f64_e32 v[210:211], v[34:35], v[144:145]
	v_add_f64_e64 v[78:79], v[82:83], -v[98:99]
	v_add_f64_e32 v[82:83], v[98:99], v[82:83]
	v_fma_f64 v[98:99], v[120:121], s[20:21], v[130:131]
	v_add_f64_e32 v[112:113], v[84:85], v[118:119]
	v_add_f64_e32 v[120:121], v[52:53], v[44:45]
	v_fma_f64 v[64:65], v[206:207], s[2:3], v[62:63]
	v_fma_f64 v[86:87], v[122:123], s[2:3], v[76:77]
	v_fma_f64 v[62:63], v[128:129], s[12:13], -v[204:205]
	v_add_f64_e32 v[128:129], v[18:19], v[58:59]
	v_add_f64_e32 v[208:209], v[32:33], v[118:119]
	v_fma_f64 v[118:119], v[156:157], s[18:19], v[102:103]
	v_fma_f64 v[98:99], v[206:207], s[2:3], v[98:99]
	v_add_f64_e32 v[120:121], v[120:121], v[56:57]
	v_add_f64_e32 v[34:35], v[64:65], v[210:211]
	v_add_f64_e32 v[76:77], v[86:87], v[80:81]
	v_add_f64_e64 v[80:81], v[80:81], -v[86:87]
	v_fma_f64 v[86:87], v[96:97], s[8:9], v[116:117]
	v_fma_f64 v[96:97], v[124:125], s[20:21], v[204:205]
	;; [unrolled: 1-line block ×4, first 2 shown]
	v_add_f64_e64 v[124:125], v[44:45], -v[56:57]
	v_add_f64_e64 v[64:65], v[210:211], -v[64:65]
	v_add_f64_e32 v[114:115], v[86:87], v[144:145]
	v_fma_f64 v[96:97], v[122:123], s[2:3], v[96:97]
	v_add_f64_e64 v[122:123], v[52:53], -v[44:45]
	v_add_f64_e64 v[144:145], v[58:59], -v[54:55]
	v_mul_f64_e32 v[54:55], s[12:13], v[124:125]
	v_add_f64_e64 v[32:33], v[208:209], -v[62:63]
	v_add_f64_e32 v[62:63], v[62:63], v[208:209]
	v_add_f64_e64 v[86:87], v[114:115], -v[98:99]
	v_add_f64_e32 v[98:99], v[98:99], v[114:115]
	v_mul_f64_e32 v[114:115], s[14:15], v[16:17]
	v_mul_f64_e32 v[16:17], s[8:9], v[68:69]
	v_add_f64_e32 v[84:85], v[96:97], v[112:113]
	v_add_f64_e64 v[96:97], v[112:113], -v[96:97]
	v_add_f64_e64 v[112:113], v[46:47], -v[58:59]
	v_mul_f64_e32 v[46:47], s[8:9], v[92:93]
	v_mul_f64_e32 v[122:123], s[14:15], v[122:123]
	v_fma_f64 v[16:17], v[70:71], s[16:17], -v[16:17]
	s_delay_alu instid0(VALU_DEP_3) | instskip(NEXT) | instid1(VALU_DEP_2)
	v_fma_f64 v[46:47], v[94:95], s[16:17], -v[46:47]
	v_add_f64_e32 v[44:45], v[16:17], v[116:117]
	v_fma_f64 v[16:17], v[112:113], s[12:13], -v[114:115]
	s_delay_alu instid0(VALU_DEP_3) | instskip(NEXT) | instid1(VALU_DEP_2)
	v_add_f64_e32 v[46:47], v[46:47], v[118:119]
	v_fma_f64 v[130:131], v[128:129], s[2:3], v[16:17]
	v_fma_f64 v[16:17], v[124:125], s[12:13], -v[122:123]
	v_add_f64_e64 v[124:125], v[28:29], -v[40:41]
	s_delay_alu instid0(VALU_DEP_2) | instskip(NEXT) | instid1(VALU_DEP_4)
	v_fma_f64 v[134:135], v[120:121], s[2:3], v[16:17]
	v_add_f64_e64 v[16:17], v[44:45], -v[130:131]
	v_add_f64_e32 v[44:45], v[130:131], v[44:45]
	v_add_f64_e64 v[130:131], v[132:133], -v[146:147]
	v_add_f64_e64 v[132:133], v[150:151], -v[154:155]
	v_add_f64_e32 v[18:19], v[134:135], v[46:47]
	v_add_f64_e64 v[46:47], v[46:47], -v[134:135]
	v_add_f64_e64 v[134:135], v[56:57], -v[52:53]
	v_mul_f64_e32 v[130:131], s[22:23], v[130:131]
	v_mul_f64_e32 v[132:133], s[22:23], v[132:133]
	;; [unrolled: 1-line block ×3, first 2 shown]
	s_delay_alu instid0(VALU_DEP_4) | instskip(NEXT) | instid1(VALU_DEP_4)
	v_fma_f64 v[54:55], v[134:135], s[26:27], -v[54:55]
	v_fma_f64 v[56:57], v[70:71], s[24:25], -v[130:131]
	s_delay_alu instid0(VALU_DEP_4) | instskip(NEXT) | instid1(VALU_DEP_4)
	v_fma_f64 v[58:59], v[94:95], s[24:25], -v[132:133]
	v_fma_f64 v[52:53], v[144:145], s[26:27], -v[52:53]
	v_fma_f64 v[68:69], v[68:69], s[8:9], v[130:131]
	v_fma_f64 v[94:95], v[120:121], s[2:3], v[54:55]
	v_add_f64_e32 v[56:57], v[56:57], v[116:117]
	v_add_f64_e32 v[58:59], v[58:59], v[118:119]
	v_fma_f64 v[70:71], v[128:129], s[2:3], v[52:53]
	v_add_f64_e32 v[112:113], v[68:69], v[116:117]
	v_fma_f64 v[116:117], v[164:165], s[18:19], v[104:105]
	s_delay_alu instid0(VALU_DEP_4) | instskip(NEXT) | instid1(VALU_DEP_4)
	v_add_f64_e64 v[54:55], v[58:59], -v[94:95]
	v_add_f64_e32 v[52:53], v[70:71], v[56:57]
	v_add_f64_e64 v[56:57], v[56:57], -v[70:71]
	v_add_f64_e32 v[58:59], v[94:95], v[58:59]
	v_fma_f64 v[70:71], v[92:93], s[8:9], v[132:133]
	v_fma_f64 v[94:95], v[134:135], s[20:21], v[122:123]
	;; [unrolled: 1-line block ×3, first 2 shown]
	v_add_f64_e32 v[122:123], v[36:37], v[28:29]
	v_add_f64_e64 v[134:135], v[40:41], -v[36:37]
	v_add_f64_e32 v[114:115], v[70:71], v[118:119]
	v_fma_f64 v[94:95], v[120:121], s[2:3], v[94:95]
	v_fma_f64 v[92:93], v[128:129], s[2:3], v[92:93]
	v_add_f64_e64 v[120:121], v[36:37], -v[28:29]
	v_add_f64_e32 v[128:129], v[10:11], v[42:43]
	v_fma_f64 v[118:119], v[181:182], s[18:19], v[106:107]
	v_add_f64_e32 v[122:123], v[122:123], v[40:41]
	v_add_f64_e64 v[70:71], v[114:115], -v[94:95]
	v_add_f64_e32 v[94:95], v[94:95], v[114:115]
	v_mul_f64_e32 v[114:115], s[14:15], v[8:9]
	v_mul_f64_e32 v[8:9], s[8:9], v[48:49]
	v_add_f64_e32 v[68:69], v[92:93], v[112:113]
	v_add_f64_e64 v[92:93], v[112:113], -v[92:93]
	v_add_f64_e64 v[112:113], v[30:31], -v[42:43]
	v_mul_f64_e32 v[30:31], s[8:9], v[88:89]
	v_mul_f64_e32 v[120:121], s[14:15], v[120:121]
	v_fma_f64 v[8:9], v[50:51], s[16:17], -v[8:9]
	s_delay_alu instid0(VALU_DEP_4) | instskip(NEXT) | instid1(VALU_DEP_4)
	v_mul_f64_e32 v[36:37], s[12:13], v[112:113]
	v_fma_f64 v[30:31], v[90:91], s[16:17], -v[30:31]
	s_delay_alu instid0(VALU_DEP_3) | instskip(SKIP_1) | instid1(VALU_DEP_3)
	v_add_f64_e32 v[28:29], v[8:9], v[116:117]
	v_fma_f64 v[8:9], v[112:113], s[12:13], -v[114:115]
	v_add_f64_e32 v[30:31], v[30:31], v[118:119]
	s_delay_alu instid0(VALU_DEP_2) | instskip(SKIP_1) | instid1(VALU_DEP_1)
	v_fma_f64 v[130:131], v[128:129], s[2:3], v[8:9]
	v_fma_f64 v[8:9], v[124:125], s[12:13], -v[120:121]
	v_fma_f64 v[132:133], v[122:123], s[2:3], v[8:9]
	s_delay_alu instid0(VALU_DEP_3)
	v_add_f64_e64 v[8:9], v[28:29], -v[130:131]
	v_add_f64_e32 v[28:29], v[130:131], v[28:29]
	v_add_f64_e64 v[130:131], v[136:137], -v[158:159]
	v_add_f64_e64 v[136:137], v[42:43], -v[38:39]
	v_mul_f64_e32 v[38:39], s[12:13], v[124:125]
	v_add_f64_e64 v[124:125], v[12:13], -v[26:27]
	v_add_f64_e32 v[10:11], v[132:133], v[30:31]
	v_add_f64_e64 v[30:31], v[30:31], -v[132:133]
	v_add_f64_e64 v[132:133], v[166:167], -v[179:180]
	v_mul_f64_e32 v[130:131], s[22:23], v[130:131]
	v_fma_f64 v[36:37], v[136:137], s[26:27], -v[36:37]
	v_fma_f64 v[38:39], v[134:135], s[26:27], -v[38:39]
	s_delay_alu instid0(VALU_DEP_4) | instskip(NEXT) | instid1(VALU_DEP_4)
	v_mul_f64_e32 v[132:133], s[22:23], v[132:133]
	v_fma_f64 v[40:41], v[50:51], s[24:25], -v[130:131]
	s_delay_alu instid0(VALU_DEP_4) | instskip(SKIP_1) | instid1(VALU_DEP_4)
	v_fma_f64 v[50:51], v[128:129], s[2:3], v[36:37]
	v_fma_f64 v[48:49], v[48:49], s[8:9], v[130:131]
	v_fma_f64 v[42:43], v[90:91], s[24:25], -v[132:133]
	s_delay_alu instid0(VALU_DEP_4) | instskip(SKIP_1) | instid1(VALU_DEP_4)
	v_add_f64_e32 v[40:41], v[40:41], v[116:117]
	v_fma_f64 v[90:91], v[122:123], s[2:3], v[38:39]
	v_add_f64_e32 v[112:113], v[48:49], v[116:117]
	v_fma_f64 v[116:117], v[190:191], s[18:19], v[108:109]
	v_add_f64_e32 v[42:43], v[42:43], v[118:119]
	v_add_f64_e32 v[36:37], v[50:51], v[40:41]
	v_add_f64_e64 v[40:41], v[40:41], -v[50:51]
	v_fma_f64 v[50:51], v[88:89], s[8:9], v[132:133]
	v_fma_f64 v[88:89], v[136:137], s[20:21], v[114:115]
	v_add_f64_e64 v[136:137], v[24:25], -v[22:23]
	v_mul_f64_e32 v[22:23], s[12:13], v[124:125]
	v_add_f64_e64 v[38:39], v[42:43], -v[90:91]
	v_add_f64_e32 v[42:43], v[90:91], v[42:43]
	v_fma_f64 v[90:91], v[134:135], s[20:21], v[120:121]
	v_add_f64_e32 v[114:115], v[50:51], v[118:119]
	v_fma_f64 v[88:89], v[128:129], s[2:3], v[88:89]
	v_add_f64_e64 v[120:121], v[20:21], -v[12:13]
	v_add_f64_e32 v[128:129], v[6:7], v[24:25]
	v_fma_f64 v[118:119], v[202:203], s[18:19], v[110:111]
	v_add_f64_e64 v[134:135], v[26:27], -v[20:21]
	v_fma_f64 v[90:91], v[122:123], s[2:3], v[90:91]
	v_add_f64_e32 v[122:123], v[20:21], v[12:13]
	v_add_f64_e32 v[48:49], v[88:89], v[112:113]
	v_add_f64_e64 v[88:89], v[112:113], -v[88:89]
	v_add_f64_e64 v[112:113], v[14:15], -v[24:25]
	v_mul_f64_e32 v[120:121], s[14:15], v[120:121]
	v_mul_f64_e32 v[14:15], s[8:9], v[72:73]
	v_fma_f64 v[22:23], v[134:135], s[26:27], -v[22:23]
	v_add_f64_e64 v[50:51], v[114:115], -v[90:91]
	v_add_f64_e32 v[90:91], v[90:91], v[114:115]
	v_mul_f64_e32 v[114:115], s[14:15], v[4:5]
	v_mul_f64_e32 v[4:5], s[8:9], v[60:61]
	v_add_f64_e32 v[122:123], v[122:123], v[26:27]
	v_mul_f64_e32 v[20:21], s[12:13], v[112:113]
	v_fma_f64 v[14:15], v[74:75], s[16:17], -v[14:15]
	s_delay_alu instid0(VALU_DEP_4) | instskip(NEXT) | instid1(VALU_DEP_3)
	v_fma_f64 v[4:5], v[66:67], s[16:17], -v[4:5]
	v_fma_f64 v[20:21], v[136:137], s[26:27], -v[20:21]
	s_delay_alu instid0(VALU_DEP_3) | instskip(NEXT) | instid1(VALU_DEP_3)
	v_add_f64_e32 v[14:15], v[14:15], v[118:119]
	v_add_f64_e32 v[12:13], v[4:5], v[116:117]
	v_fma_f64 v[4:5], v[112:113], s[12:13], -v[114:115]
	s_delay_alu instid0(VALU_DEP_1) | instskip(SKIP_1) | instid1(VALU_DEP_1)
	v_fma_f64 v[130:131], v[128:129], s[2:3], v[4:5]
	v_fma_f64 v[4:5], v[124:125], s[12:13], -v[120:121]
	v_fma_f64 v[132:133], v[122:123], s[2:3], v[4:5]
	s_delay_alu instid0(VALU_DEP_3) | instskip(SKIP_2) | instid1(VALU_DEP_4)
	v_add_f64_e64 v[4:5], v[12:13], -v[130:131]
	v_add_f64_e32 v[12:13], v[130:131], v[12:13]
	v_add_f64_e64 v[130:131], v[140:141], -v[188:189]
	v_add_f64_e32 v[6:7], v[132:133], v[14:15]
	v_add_f64_e64 v[14:15], v[14:15], -v[132:133]
	v_add_f64_e64 v[132:133], v[192:193], -v[200:201]
	s_delay_alu instid0(VALU_DEP_4) | instskip(NEXT) | instid1(VALU_DEP_2)
	v_mul_f64_e32 v[130:131], s[22:23], v[130:131]
	v_mul_f64_e32 v[132:133], s[22:23], v[132:133]
	s_delay_alu instid0(VALU_DEP_2) | instskip(SKIP_2) | instid1(VALU_DEP_4)
	v_fma_f64 v[24:25], v[66:67], s[24:25], -v[130:131]
	v_fma_f64 v[66:67], v[128:129], s[2:3], v[20:21]
	v_fma_f64 v[60:61], v[60:61], s[8:9], v[130:131]
	v_fma_f64 v[26:27], v[74:75], s[24:25], -v[132:133]
	s_delay_alu instid0(VALU_DEP_4) | instskip(SKIP_1) | instid1(VALU_DEP_4)
	v_add_f64_e32 v[24:25], v[24:25], v[116:117]
	v_fma_f64 v[74:75], v[122:123], s[2:3], v[22:23]
	v_add_f64_e32 v[60:61], v[60:61], v[116:117]
	s_delay_alu instid0(VALU_DEP_4) | instskip(NEXT) | instid1(VALU_DEP_4)
	v_add_f64_e32 v[26:27], v[26:27], v[118:119]
	v_add_f64_e32 v[20:21], v[66:67], v[24:25]
	v_add_f64_e64 v[24:25], v[24:25], -v[66:67]
	v_fma_f64 v[66:67], v[72:73], s[8:9], v[132:133]
	v_fma_f64 v[72:73], v[136:137], s[20:21], v[114:115]
	v_add_f64_e64 v[22:23], v[26:27], -v[74:75]
	v_add_f64_e32 v[26:27], v[74:75], v[26:27]
	v_fma_f64 v[74:75], v[134:135], s[20:21], v[120:121]
	v_add_f64_e32 v[66:67], v[66:67], v[118:119]
	v_fma_f64 v[112:113], v[128:129], s[2:3], v[72:73]
	s_delay_alu instid0(VALU_DEP_3) | instskip(NEXT) | instid1(VALU_DEP_2)
	v_fma_f64 v[114:115], v[122:123], s[2:3], v[74:75]
	v_add_f64_e32 v[72:73], v[112:113], v[60:61]
	v_add_f64_e64 v[128:129], v[60:61], -v[112:113]
	scratch_load_b32 v60, off, off offset:600 th:TH_LOAD_LU ; 4-byte Folded Reload
	s_wait_loadcnt 0x0
	ds_store_b128 v60, v[0:3]
	ds_store_b128 v60, v[84:87] offset:64
	ds_store_b128 v60, v[76:79] offset:128
	;; [unrolled: 1-line block ×6, first 2 shown]
	scratch_load_b32 v0, off, off offset:596 th:TH_LOAD_LU ; 4-byte Folded Reload
	v_add_f64_e64 v[74:75], v[66:67], -v[114:115]
	v_add_f64_e32 v[130:131], v[114:115], v[66:67]
	s_wait_loadcnt 0x0
	ds_store_b128 v0, v[100:103]
	ds_store_b128 v0, v[68:71] offset:64
	ds_store_b128 v0, v[52:55] offset:128
	;; [unrolled: 1-line block ×6, first 2 shown]
	scratch_load_b32 v0, off, off offset:608 th:TH_LOAD_LU ; 4-byte Folded Reload
	s_wait_loadcnt 0x0
	ds_store_b128 v0, v[104:107]
	ds_store_b128 v0, v[48:51] offset:64
	ds_store_b128 v0, v[36:39] offset:128
	;; [unrolled: 1-line block ×6, first 2 shown]
	scratch_load_b32 v0, off, off offset:604 th:TH_LOAD_LU ; 4-byte Folded Reload
	s_wait_loadcnt 0x0
	ds_store_b128 v0, v[108:111]
	ds_store_b128 v0, v[72:75] offset:64
	ds_store_b128 v0, v[20:23] offset:128
	;; [unrolled: 1-line block ×6, first 2 shown]
	global_wb scope:SCOPE_SE
	s_wait_dscnt 0x0
	s_barrier_signal -1
	s_barrier_wait -1
	global_inv scope:SCOPE_SE
	ds_load_b128 v[64:67], v176
	ds_load_b128 v[60:63], v176 offset:896
	ds_load_b128 v[232:235], v176 offset:16576
	;; [unrolled: 1-line block ×33, first 2 shown]
	s_and_saveexec_b32 s1, s0
	s_cbranch_execz .LBB0_19
; %bb.18:
	ds_load_b128 v[128:131], v176 offset:15232
	ds_load_b128 v[224:227], v176 offset:30912
.LBB0_19:
	s_wait_alu 0xfffe
	s_or_b32 exec_lo, exec_lo, s1
	s_clause 0x2
	scratch_load_b128 v[110:113], off, off offset:612 th:TH_LOAD_LU
	scratch_load_b128 v[116:119], off, off offset:732 th:TH_LOAD_LU
	;; [unrolled: 1-line block ×3, first 2 shown]
	s_wait_loadcnt_dscnt 0x203
	v_mul_f64_e32 v[108:109], v[112:113], v[106:107]
	s_delay_alu instid0(VALU_DEP_1)
	v_fma_f64 v[108:109], v[110:111], v[104:105], v[108:109]
	v_mul_f64_e32 v[104:105], v[112:113], v[104:105]
	scratch_load_b128 v[112:115], off, off offset:716 th:TH_LOAD_LU ; 16-byte Folded Reload
	v_fma_f64 v[104:105], v[110:111], v[106:107], -v[104:105]
	s_wait_loadcnt 0x0
	v_mul_f64_e32 v[106:107], v[114:115], v[234:235]
	v_mul_f64_e32 v[110:111], v[114:115], v[232:233]
	;; [unrolled: 1-line block ×3, first 2 shown]
	s_delay_alu instid0(VALU_DEP_3) | instskip(NEXT) | instid1(VALU_DEP_3)
	v_fma_f64 v[106:107], v[112:113], v[232:233], v[106:107]
	v_fma_f64 v[110:111], v[112:113], v[234:235], -v[110:111]
	v_mul_f64_e32 v[112:113], v[118:119], v[230:231]
	s_delay_alu instid0(VALU_DEP_4) | instskip(SKIP_1) | instid1(VALU_DEP_3)
	v_fma_f64 v[114:115], v[116:117], v[230:231], -v[114:115]
	v_mul_f64_e32 v[118:119], v[122:123], v[148:149]
	v_fma_f64 v[112:113], v[116:117], v[228:229], v[112:113]
	v_mul_f64_e32 v[116:117], v[122:123], v[150:151]
	s_delay_alu instid0(VALU_DEP_3) | instskip(NEXT) | instid1(VALU_DEP_2)
	v_fma_f64 v[118:119], v[120:121], v[150:151], -v[118:119]
	v_fma_f64 v[116:117], v[120:121], v[148:149], v[116:117]
	scratch_load_b128 v[148:151], off, off offset:764 th:TH_LOAD_LU ; 16-byte Folded Reload
	s_wait_loadcnt 0x0
	v_mul_f64_e32 v[120:121], v[150:151], v[146:147]
	v_mul_f64_e32 v[122:123], v[150:151], v[144:145]
	s_delay_alu instid0(VALU_DEP_2) | instskip(NEXT) | instid1(VALU_DEP_2)
	v_fma_f64 v[120:121], v[148:149], v[144:145], v[120:121]
	v_fma_f64 v[122:123], v[148:149], v[146:147], -v[122:123]
	s_clause 0x1
	scratch_load_b128 v[144:147], off, off offset:780 th:TH_LOAD_LU
	scratch_load_b128 v[148:151], off, off offset:972 th:TH_LOAD_LU
	s_wait_loadcnt 0x1
	v_mul_f64_e32 v[124:125], v[146:147], v[142:143]
	s_delay_alu instid0(VALU_DEP_1) | instskip(SKIP_1) | instid1(VALU_DEP_1)
	v_fma_f64 v[124:125], v[144:145], v[140:141], v[124:125]
	v_mul_f64_e32 v[140:141], v[146:147], v[140:141]
	v_fma_f64 v[140:141], v[144:145], v[142:143], -v[140:141]
	scratch_load_b128 v[144:147], off, off offset:796 th:TH_LOAD_LU ; 16-byte Folded Reload
	s_wait_loadcnt 0x0
	v_mul_f64_e32 v[142:143], v[146:147], v[138:139]
	s_delay_alu instid0(VALU_DEP_1) | instskip(SKIP_1) | instid1(VALU_DEP_1)
	v_fma_f64 v[142:143], v[144:145], v[136:137], v[142:143]
	v_mul_f64_e32 v[136:137], v[146:147], v[136:137]
	v_fma_f64 v[136:137], v[144:145], v[138:139], -v[136:137]
	scratch_load_b128 v[144:147], off, off offset:812 th:TH_LOAD_LU ; 16-byte Folded Reload
	;; [unrolled: 7-line block ×8, first 2 shown]
	s_wait_loadcnt 0x0
	v_mul_f64_e32 v[86:87], v[146:147], v[78:79]
	s_delay_alu instid0(VALU_DEP_1) | instskip(SKIP_1) | instid1(VALU_DEP_1)
	v_fma_f64 v[86:87], v[144:145], v[76:77], v[86:87]
	v_mul_f64_e32 v[76:77], v[146:147], v[76:77]
	v_fma_f64 v[144:145], v[144:145], v[78:79], -v[76:77]
	v_mul_f64_e32 v[76:77], v[150:151], v[74:75]
	v_add_f64_e64 v[78:79], v[22:23], -v[84:85]
	s_delay_alu instid0(VALU_DEP_2) | instskip(SKIP_1) | instid1(VALU_DEP_3)
	v_fma_f64 v[146:147], v[148:149], v[72:73], v[76:77]
	v_mul_f64_e32 v[72:73], v[150:151], v[72:73]
	v_fma_f64 v[22:23], v[22:23], 2.0, -v[78:79]
	s_delay_alu instid0(VALU_DEP_3) | instskip(NEXT) | instid1(VALU_DEP_3)
	v_add_f64_e64 v[84:85], v[12:13], -v[146:147]
	v_fma_f64 v[148:149], v[148:149], v[74:75], -v[72:73]
	scratch_load_b128 v[74:77], off, off offset:988 th:TH_LOAD_LU ; 16-byte Folded Reload
	v_fma_f64 v[12:13], v[12:13], 2.0, -v[84:85]
	s_wait_loadcnt_dscnt 0x1
	v_mul_f64_e32 v[72:73], v[76:77], v[82:83]
	s_delay_alu instid0(VALU_DEP_1) | instskip(SKIP_3) | instid1(VALU_DEP_3)
	v_fma_f64 v[150:151], v[74:75], v[80:81], v[72:73]
	v_mul_f64_e32 v[72:73], v[76:77], v[80:81]
	v_add_f64_e64 v[80:81], v[8:9], -v[86:87]
	v_add_f64_e64 v[86:87], v[14:15], -v[148:149]
	v_fma_f64 v[152:153], v[74:75], v[82:83], -v[72:73]
	scratch_load_b128 v[74:77], off, off offset:1004 th:TH_LOAD_LU ; 16-byte Folded Reload
	global_wb scope:SCOPE_SE
	s_wait_loadcnt_dscnt 0x0
	s_barrier_signal -1
	s_barrier_wait -1
	global_inv scope:SCOPE_SE
	v_add_f64_e64 v[82:83], v[10:11], -v[144:145]
	v_fma_f64 v[8:9], v[8:9], 2.0, -v[80:81]
	v_fma_f64 v[14:15], v[14:15], 2.0, -v[86:87]
	s_delay_alu instid0(VALU_DEP_3) | instskip(SKIP_1) | instid1(VALU_DEP_1)
	v_fma_f64 v[10:11], v[10:11], 2.0, -v[82:83]
	v_mul_f64_e32 v[72:73], v[76:77], v[70:71]
	v_fma_f64 v[154:155], v[74:75], v[68:69], v[72:73]
	scratch_load_b32 v72, off, off offset:696 th:TH_LOAD_LU ; 4-byte Folded Reload
	v_mul_f64_e32 v[68:69], v[76:77], v[68:69]
	v_add_f64_e64 v[76:77], v[20:21], -v[90:91]
	v_add_f64_e64 v[90:91], v[6:7], -v[152:153]
	s_delay_alu instid0(VALU_DEP_3)
	v_fma_f64 v[156:157], v[74:75], v[70:71], -v[68:69]
	v_add_f64_e64 v[68:69], v[64:65], -v[108:109]
	v_add_f64_e64 v[70:71], v[66:67], -v[104:105]
	;; [unrolled: 1-line block ×3, first 2 shown]
	v_fma_f64 v[20:21], v[20:21], 2.0, -v[76:77]
	v_add_f64_e64 v[88:89], v[4:5], -v[150:151]
	v_fma_f64 v[6:7], v[6:7], 2.0, -v[90:91]
	v_fma_f64 v[64:65], v[64:65], 2.0, -v[68:69]
	;; [unrolled: 1-line block ×4, first 2 shown]
	s_wait_loadcnt 0x0
	ds_store_b128 v72, v[68:71] offset:448
	ds_store_b128 v72, v[64:67]
	scratch_load_b32 v68, off, off offset:920 th:TH_LOAD_LU ; 4-byte Folded Reload
	v_add_f64_e64 v[64:65], v[60:61], -v[106:107]
	v_add_f64_e64 v[66:67], v[62:63], -v[110:111]
	;; [unrolled: 1-line block ×4, first 2 shown]
	v_fma_f64 v[4:5], v[4:5], 2.0, -v[88:89]
	v_add_f64_e64 v[92:93], v[0:1], -v[154:155]
	v_add_f64_e64 v[94:95], v[2:3], -v[156:157]
	v_fma_f64 v[60:61], v[60:61], 2.0, -v[64:65]
	v_fma_f64 v[62:63], v[62:63], 2.0, -v[66:67]
	v_fma_f64 v[30:31], v[30:31], 2.0, -v[70:71]
	v_fma_f64 v[16:17], v[16:17], 2.0, -v[72:73]
	s_wait_loadcnt 0x0
	ds_store_b128 v68, v[60:63]
	ds_store_b128 v68, v[64:67] offset:448
	scratch_load_b32 v64, off, off offset:900 th:TH_LOAD_LU ; 4-byte Folded Reload
	v_add_f64_e64 v[60:61], v[56:57], -v[112:113]
	v_add_f64_e64 v[62:63], v[58:59], -v[114:115]
	;; [unrolled: 1-line block ×4, first 2 shown]
	v_fma_f64 v[0:1], v[0:1], 2.0, -v[92:93]
	v_fma_f64 v[2:3], v[2:3], 2.0, -v[94:95]
	;; [unrolled: 1-line block ×6, first 2 shown]
	s_wait_loadcnt 0x0
	ds_store_b128 v64, v[56:59]
	ds_store_b128 v64, v[60:63] offset:448
	scratch_load_b32 v60, off, off offset:880 th:TH_LOAD_LU ; 4-byte Folded Reload
	v_add_f64_e64 v[56:57], v[52:53], -v[116:117]
	v_add_f64_e64 v[58:59], v[54:55], -v[118:119]
	;; [unrolled: 1-line block ×4, first 2 shown]
	s_delay_alu instid0(VALU_DEP_4) | instskip(NEXT) | instid1(VALU_DEP_4)
	v_fma_f64 v[52:53], v[52:53], 2.0, -v[56:57]
	v_fma_f64 v[54:55], v[54:55], 2.0, -v[58:59]
	s_delay_alu instid0(VALU_DEP_4) | instskip(NEXT) | instid1(VALU_DEP_4)
	v_fma_f64 v[38:39], v[38:39], 2.0, -v[62:63]
	v_fma_f64 v[24:25], v[24:25], 2.0, -v[64:65]
	s_wait_loadcnt 0x0
	ds_store_b128 v60, v[52:55]
	ds_store_b128 v60, v[56:59] offset:448
	scratch_load_b32 v56, off, off offset:844 th:TH_LOAD_LU ; 4-byte Folded Reload
	v_add_f64_e64 v[52:53], v[48:49], -v[120:121]
	v_add_f64_e64 v[54:55], v[50:51], -v[122:123]
	;; [unrolled: 1-line block ×4, first 2 shown]
	s_delay_alu instid0(VALU_DEP_4) | instskip(NEXT) | instid1(VALU_DEP_4)
	v_fma_f64 v[48:49], v[48:49], 2.0, -v[52:53]
	v_fma_f64 v[50:51], v[50:51], 2.0, -v[54:55]
	s_delay_alu instid0(VALU_DEP_4) | instskip(NEXT) | instid1(VALU_DEP_4)
	v_fma_f64 v[34:35], v[34:35], 2.0, -v[58:59]
	v_fma_f64 v[36:37], v[36:37], 2.0, -v[60:61]
	s_wait_loadcnt 0x0
	ds_store_b128 v56, v[48:51]
	ds_store_b128 v56, v[52:55] offset:448
	scratch_load_b32 v96, off, off offset:712 th:TH_LOAD_LU ; 4-byte Folded Reload
	v_add_f64_e64 v[48:49], v[40:41], -v[124:125]
	v_add_f64_e64 v[50:51], v[42:43], -v[140:141]
	;; [unrolled: 1-line block ×5, first 2 shown]
	v_fma_f64 v[40:41], v[40:41], 2.0, -v[48:49]
	v_fma_f64 v[42:43], v[42:43], 2.0, -v[50:51]
	v_fma_f64 v[44:45], v[44:45], 2.0, -v[52:53]
	v_fma_f64 v[46:47], v[46:47], 2.0, -v[54:55]
	v_fma_f64 v[32:33], v[32:33], 2.0, -v[56:57]
	s_wait_loadcnt 0x0
	ds_store_b128 v96, v[40:43]
	ds_store_b128 v96, v[48:51] offset:448
	scratch_load_b32 v40, off, off offset:708 th:TH_LOAD_LU ; 4-byte Folded Reload
	s_wait_loadcnt 0x0
	ds_store_b128 v40, v[44:47]
	ds_store_b128 v40, v[52:55] offset:448
	scratch_load_b32 v40, off, off offset:704 th:TH_LOAD_LU ; 4-byte Folded Reload
	;; [unrolled: 4-line block ×11, first 2 shown]
	s_wait_loadcnt 0x0
	ds_store_b128 v4, v[0:3]
	ds_store_b128 v4, v[92:95] offset:448
	s_and_saveexec_b32 s1, s0
	s_cbranch_execz .LBB0_21
; %bb.20:
	s_clause 0x1
	scratch_load_b128 v[4:7], off, off offset:1728 th:TH_LOAD_LU
	scratch_load_b32 v8, off, off offset:628 th:TH_LOAD_LU
	s_wait_loadcnt 0x1
	v_mul_f64_e32 v[0:1], v[6:7], v[224:225]
	v_mul_f64_e32 v[2:3], v[6:7], v[226:227]
	s_delay_alu instid0(VALU_DEP_2) | instskip(NEXT) | instid1(VALU_DEP_2)
	v_fma_f64 v[0:1], v[4:5], v[226:227], -v[0:1]
	v_fma_f64 v[4:5], v[4:5], v[224:225], v[2:3]
	s_delay_alu instid0(VALU_DEP_2) | instskip(NEXT) | instid1(VALU_DEP_2)
	v_add_f64_e64 v[2:3], v[130:131], -v[0:1]
	v_add_f64_e64 v[0:1], v[128:129], -v[4:5]
	s_delay_alu instid0(VALU_DEP_2) | instskip(NEXT) | instid1(VALU_DEP_2)
	v_fma_f64 v[6:7], v[130:131], 2.0, -v[2:3]
	v_fma_f64 v[4:5], v[128:129], 2.0, -v[0:1]
	s_wait_loadcnt 0x0
	ds_store_b128 v8, v[4:7] offset:30464
	ds_store_b128 v8, v[0:3] offset:30912
.LBB0_21:
	s_wait_alu 0xfffe
	s_or_b32 exec_lo, exec_lo, s1
	global_wb scope:SCOPE_SE
	s_wait_dscnt 0x0
	s_barrier_signal -1
	s_barrier_wait -1
	global_inv scope:SCOPE_SE
	ds_load_b128 v[0:3], v176 offset:4480
	s_clause 0x3
	scratch_load_b128 v[20:23], off, off offset:1712 th:TH_LOAD_LU
	scratch_load_b128 v[24:27], off, off offset:1696 th:TH_LOAD_LU
	;; [unrolled: 1-line block ×4, first 2 shown]
	s_mov_b32 s12, 0xe976ee23
	s_mov_b32 s13, 0x3fe11646
	;; [unrolled: 1-line block ×11, first 2 shown]
	s_wait_alu 0xfffe
	s_mov_b32 s24, s16
	s_mov_b32 s14, 0x5476071b
	;; [unrolled: 1-line block ×4, first 2 shown]
	s_wait_dscnt 0x0
	v_mul_f64_e32 v[4:5], v[198:199], v[2:3]
	s_wait_alu 0xfffe
	s_mov_b32 s22, s14
	s_clause 0x4
	scratch_load_b128 v[42:45], off, off offset:1212 th:TH_LOAD_LU
	scratch_load_b128 v[38:41], off, off offset:1196 th:TH_LOAD_LU
	;; [unrolled: 1-line block ×5, first 2 shown]
	v_fma_f64 v[8:9], v[196:197], v[0:1], v[4:5]
	v_mul_f64_e32 v[0:1], v[198:199], v[0:1]
	s_delay_alu instid0(VALU_DEP_1) | instskip(SKIP_3) | instid1(VALU_DEP_1)
	v_fma_f64 v[10:11], v[196:197], v[2:3], -v[0:1]
	ds_load_b128 v[0:3], v176 offset:5376
	s_wait_dscnt 0x0
	v_mul_f64_e32 v[4:5], v[198:199], v[2:3]
	v_fma_f64 v[104:105], v[196:197], v[0:1], v[4:5]
	v_mul_f64_e32 v[0:1], v[198:199], v[0:1]
	s_delay_alu instid0(VALU_DEP_1) | instskip(SKIP_3) | instid1(VALU_DEP_1)
	v_fma_f64 v[106:107], v[196:197], v[2:3], -v[0:1]
	ds_load_b128 v[0:3], v176 offset:8960
	s_wait_dscnt 0x0
	v_mul_f64_e32 v[4:5], v[186:187], v[2:3]
	;; [unrolled: 7-line block ×3, first 2 shown]
	v_fma_f64 v[108:109], v[184:185], v[0:1], v[4:5]
	v_mul_f64_e32 v[0:1], v[186:187], v[0:1]
	s_delay_alu instid0(VALU_DEP_1) | instskip(SKIP_3) | instid1(VALU_DEP_1)
	v_fma_f64 v[110:111], v[184:185], v[2:3], -v[0:1]
	ds_load_b128 v[0:3], v176 offset:13440
	s_wait_loadcnt_dscnt 0x800
	v_mul_f64_e32 v[4:5], v[22:23], v[2:3]
	v_fma_f64 v[16:17], v[20:21], v[0:1], v[4:5]
	v_mul_f64_e32 v[0:1], v[22:23], v[0:1]
	s_delay_alu instid0(VALU_DEP_1) | instskip(SKIP_3) | instid1(VALU_DEP_1)
	v_fma_f64 v[18:19], v[20:21], v[2:3], -v[0:1]
	ds_load_b128 v[0:3], v176 offset:14336
	s_wait_dscnt 0x0
	v_mul_f64_e32 v[4:5], v[22:23], v[2:3]
	v_fma_f64 v[112:113], v[20:21], v[0:1], v[4:5]
	v_mul_f64_e32 v[0:1], v[22:23], v[0:1]
	s_delay_alu instid0(VALU_DEP_1) | instskip(SKIP_3) | instid1(VALU_DEP_1)
	v_fma_f64 v[114:115], v[20:21], v[2:3], -v[0:1]
	ds_load_b128 v[0:3], v176 offset:17920
	s_wait_loadcnt_dscnt 0x700
	v_mul_f64_e32 v[4:5], v[26:27], v[2:3]
	v_fma_f64 v[20:21], v[24:25], v[0:1], v[4:5]
	v_mul_f64_e32 v[0:1], v[26:27], v[0:1]
	s_delay_alu instid0(VALU_DEP_2) | instskip(NEXT) | instid1(VALU_DEP_2)
	v_add_f64_e32 v[134:135], v[16:17], v[20:21]
	v_fma_f64 v[22:23], v[24:25], v[2:3], -v[0:1]
	ds_load_b128 v[0:3], v176 offset:18816
	v_add_f64_e64 v[16:17], v[20:21], -v[16:17]
	s_wait_dscnt 0x0
	v_mul_f64_e32 v[4:5], v[26:27], v[2:3]
	v_add_f64_e32 v[142:143], v[18:19], v[22:23]
	v_add_f64_e64 v[18:19], v[22:23], -v[18:19]
	s_delay_alu instid0(VALU_DEP_3) | instskip(SKIP_1) | instid1(VALU_DEP_2)
	v_fma_f64 v[116:117], v[24:25], v[0:1], v[4:5]
	v_mul_f64_e32 v[0:1], v[26:27], v[0:1]
	v_add_f64_e32 v[150:151], v[112:113], v[116:117]
	s_delay_alu instid0(VALU_DEP_2)
	v_fma_f64 v[118:119], v[24:25], v[2:3], -v[0:1]
	ds_load_b128 v[0:3], v176 offset:22400
	v_add_f64_e64 v[112:113], v[116:117], -v[112:113]
	s_wait_loadcnt_dscnt 0x600
	v_mul_f64_e32 v[4:5], v[30:31], v[2:3]
	v_add_f64_e32 v[158:159], v[114:115], v[118:119]
	v_add_f64_e64 v[114:115], v[118:119], -v[114:115]
	s_delay_alu instid0(VALU_DEP_3) | instskip(SKIP_1) | instid1(VALU_DEP_1)
	v_fma_f64 v[24:25], v[28:29], v[0:1], v[4:5]
	v_mul_f64_e32 v[0:1], v[30:31], v[0:1]
	v_fma_f64 v[26:27], v[28:29], v[2:3], -v[0:1]
	ds_load_b128 v[0:3], v176 offset:23296
	s_wait_dscnt 0x0
	v_mul_f64_e32 v[4:5], v[30:31], v[2:3]
	v_add_f64_e32 v[140:141], v[14:15], v[26:27]
	s_delay_alu instid0(VALU_DEP_2) | instskip(SKIP_1) | instid1(VALU_DEP_2)
	v_fma_f64 v[120:121], v[28:29], v[0:1], v[4:5]
	v_mul_f64_e32 v[0:1], v[30:31], v[0:1]
	v_add_f64_e32 v[148:149], v[108:109], v[120:121]
	s_delay_alu instid0(VALU_DEP_2)
	v_fma_f64 v[122:123], v[28:29], v[2:3], -v[0:1]
	ds_load_b128 v[0:3], v176 offset:26880
	v_add_f64_e64 v[108:109], v[108:109], -v[120:121]
	s_wait_loadcnt_dscnt 0x500
	v_mul_f64_e32 v[4:5], v[34:35], v[2:3]
	v_add_f64_e32 v[156:157], v[110:111], v[122:123]
	s_delay_alu instid0(VALU_DEP_2) | instskip(SKIP_1) | instid1(VALU_DEP_2)
	v_fma_f64 v[28:29], v[32:33], v[0:1], v[4:5]
	v_mul_f64_e32 v[0:1], v[34:35], v[0:1]
	v_add_f64_e64 v[20:21], v[8:9], -v[28:29]
	s_delay_alu instid0(VALU_DEP_2)
	v_fma_f64 v[30:31], v[32:33], v[2:3], -v[0:1]
	ds_load_b128 v[0:3], v176 offset:27776
	s_wait_dscnt 0x0
	v_mul_f64_e32 v[4:5], v[34:35], v[2:3]
	v_add_f64_e32 v[138:139], v[10:11], v[30:31]
	v_add_f64_e64 v[22:23], v[10:11], -v[30:31]
	v_add_f64_e64 v[30:31], v[142:143], -v[140:141]
	s_delay_alu instid0(VALU_DEP_4) | instskip(SKIP_1) | instid1(VALU_DEP_2)
	v_fma_f64 v[124:125], v[32:33], v[0:1], v[4:5]
	v_mul_f64_e32 v[0:1], v[34:35], v[0:1]
	v_add_f64_e32 v[146:147], v[104:105], v[124:125]
	s_delay_alu instid0(VALU_DEP_2)
	v_fma_f64 v[128:129], v[32:33], v[2:3], -v[0:1]
	scratch_load_b128 v[32:35], off, off offset:864 th:TH_LOAD_LU ; 16-byte Folded Reload
	ds_load_b128 v[0:3], v176 offset:6272
	v_add_f64_e64 v[116:117], v[104:105], -v[124:125]
	v_add_f64_e64 v[104:105], v[110:111], -v[122:123]
	;; [unrolled: 1-line block ×5, first 2 shown]
	v_add_f64_e32 v[154:155], v[106:107], v[128:129]
	v_add_f64_e64 v[118:119], v[106:107], -v[128:129]
	v_add_f64_e32 v[106:107], v[112:113], v[108:109]
	v_add_f64_e64 v[128:129], v[158:159], -v[156:157]
	s_delay_alu instid0(VALU_DEP_4) | instskip(SKIP_2) | instid1(VALU_DEP_1)
	v_add_f64_e64 v[124:125], v[156:157], -v[154:155]
	s_wait_loadcnt_dscnt 0x0
	v_mul_f64_e32 v[4:5], v[34:35], v[2:3]
	v_fma_f64 v[80:81], v[32:33], v[0:1], v[4:5]
	v_mul_f64_e32 v[0:1], v[34:35], v[0:1]
	s_delay_alu instid0(VALU_DEP_1) | instskip(SKIP_4) | instid1(VALU_DEP_1)
	v_fma_f64 v[82:83], v[32:33], v[2:3], -v[0:1]
	scratch_load_b128 v[32:35], off, off offset:848 th:TH_LOAD_LU ; 16-byte Folded Reload
	ds_load_b128 v[0:3], v176 offset:10752
	s_wait_loadcnt_dscnt 0x0
	v_mul_f64_e32 v[4:5], v[34:35], v[2:3]
	v_fma_f64 v[84:85], v[32:33], v[0:1], v[4:5]
	v_mul_f64_e32 v[0:1], v[34:35], v[0:1]
	s_delay_alu instid0(VALU_DEP_1) | instskip(SKIP_4) | instid1(VALU_DEP_1)
	v_fma_f64 v[88:89], v[32:33], v[2:3], -v[0:1]
	scratch_load_b128 v[32:35], off, off offset:1020 th:TH_LOAD_LU ; 16-byte Folded Reload
	ds_load_b128 v[0:3], v176 offset:15232
	;; [unrolled: 8-line block ×11, first 2 shown]
	s_wait_loadcnt_dscnt 0x0
	v_mul_f64_e32 v[4:5], v[34:35], v[2:3]
	v_fma_f64 v[76:77], v[32:33], v[0:1], v[4:5]
	v_mul_f64_e32 v[0:1], v[34:35], v[0:1]
	scratch_load_b128 v[34:37], off, off offset:1180 th:TH_LOAD_LU ; 16-byte Folded Reload
	v_fma_f64 v[78:79], v[32:33], v[2:3], -v[0:1]
	ds_load_b128 v[0:3], v176 offset:8064
	s_wait_loadcnt_dscnt 0x0
	v_mul_f64_e32 v[4:5], v[36:37], v[2:3]
	s_delay_alu instid0(VALU_DEP_1) | instskip(SKIP_1) | instid1(VALU_DEP_1)
	v_fma_f64 v[32:33], v[34:35], v[0:1], v[4:5]
	v_mul_f64_e32 v[0:1], v[36:37], v[0:1]
	v_fma_f64 v[34:35], v[34:35], v[2:3], -v[0:1]
	ds_load_b128 v[0:3], v176 offset:12544
	s_wait_dscnt 0x0
	v_mul_f64_e32 v[4:5], v[40:41], v[2:3]
	s_delay_alu instid0(VALU_DEP_1) | instskip(SKIP_1) | instid1(VALU_DEP_1)
	v_fma_f64 v[36:37], v[38:39], v[0:1], v[4:5]
	v_mul_f64_e32 v[0:1], v[40:41], v[0:1]
	v_fma_f64 v[40:41], v[38:39], v[2:3], -v[0:1]
	ds_load_b128 v[0:3], v176 offset:17024
	s_wait_dscnt 0x0
	;; [unrolled: 7-line block ×5, first 2 shown]
	v_mul_f64_e32 v[4:5], v[132:133], v[2:3]
	s_delay_alu instid0(VALU_DEP_1)
	v_fma_f64 v[52:53], v[130:131], v[0:1], v[4:5]
	v_mul_f64_e32 v[0:1], v[132:133], v[0:1]
	v_add_f64_e32 v[132:133], v[12:13], v[24:25]
	v_add_f64_e64 v[12:13], v[12:13], -v[24:25]
	v_add_f64_e32 v[4:5], v[148:149], v[146:147]
	v_add_f64_e64 v[146:147], v[146:147], -v[150:151]
	v_fma_f64 v[54:55], v[130:131], v[2:3], -v[0:1]
	v_add_f64_e32 v[130:131], v[8:9], v[28:29]
	v_add_f64_e64 v[8:9], v[14:15], -v[26:27]
	v_add_f64_e64 v[14:15], v[16:17], -v[12:13]
	v_add_f64_e32 v[152:153], v[150:151], v[4:5]
	v_add_f64_e32 v[4:5], v[156:157], v[154:155]
	v_add_f64_e64 v[28:29], v[134:135], -v[132:133]
	v_add_f64_e64 v[26:27], v[140:141], -v[138:139]
	v_add_f64_e32 v[10:11], v[16:17], v[12:13]
	v_add_f64_e64 v[150:151], v[116:117], -v[112:113]
	v_add_f64_e32 v[0:1], v[132:133], v[130:131]
	v_add_f64_e64 v[24:25], v[132:133], -v[130:131]
	v_add_f64_e64 v[132:133], v[12:13], -v[20:21]
	v_add_f64_e32 v[12:13], v[18:19], v[8:9]
	v_add_f64_e64 v[166:167], v[8:9], -v[22:23]
	v_mul_f64_e32 v[172:173], s[12:13], v[14:15]
	v_add_f64_e64 v[130:131], v[130:131], -v[134:135]
	v_add_f64_e32 v[164:165], v[158:159], v[4:5]
	v_add_f64_e32 v[168:169], v[10:11], v[20:21]
	v_add_f64_e64 v[20:21], v[20:21], -v[16:17]
	v_mul_f64_e32 v[10:11], s[0:1], v[30:31]
	ds_load_b128 v[4:7], v176 offset:896
	s_wait_dscnt 0x0
	v_add_f64_e32 v[4:5], v[4:5], v[152:153]
	v_add_f64_e32 v[136:137], v[134:135], v[0:1]
	;; [unrolled: 1-line block ×3, first 2 shown]
	v_add_f64_e64 v[140:141], v[18:19], -v[8:9]
	v_add_f64_e64 v[134:135], v[138:139], -v[142:143]
	v_add_f64_e32 v[170:171], v[12:13], v[22:23]
	v_fma_f64 v[12:13], v[132:133], s[8:9], -v[172:173]
	v_add_f64_e64 v[22:23], v[22:23], -v[18:19]
	v_mul_f64_e32 v[16:17], s[8:9], v[132:133]
	v_mul_f64_e32 v[18:19], s[8:9], v[166:167]
	;; [unrolled: 1-line block ×4, first 2 shown]
	v_fma_f64 v[10:11], v[26:27], s[14:15], -v[10:11]
	v_add_f64_e32 v[6:7], v[6:7], v[164:165]
	v_add_f64_e32 v[144:145], v[142:143], v[0:1]
	ds_load_b128 v[0:3], v176
	v_mul_f64_e32 v[140:141], s[12:13], v[140:141]
	v_mul_f64_e32 v[132:133], s[20:21], v[134:135]
	v_fma_f64 v[174:175], v[168:169], s[2:3], v[12:13]
	v_fma_f64 v[142:143], v[152:153], s[18:19], v[4:5]
	v_fma_f64 v[16:17], v[20:21], s[24:25], -v[16:17]
	v_fma_f64 v[18:19], v[22:23], s[24:25], -v[18:19]
	v_fma_f64 v[20:21], v[20:21], s[16:17], v[172:173]
	v_fma_f64 v[28:29], v[28:29], s[0:1], v[130:131]
	v_fma_f64 v[8:9], v[24:25], s[14:15], -v[8:9]
	s_wait_alu 0xfffe
	v_fma_f64 v[24:25], v[24:25], s[22:23], -v[130:131]
	s_wait_dscnt 0x0
	v_add_f64_e32 v[0:1], v[0:1], v[136:137]
	v_add_f64_e32 v[2:3], v[2:3], v[144:145]
	v_fma_f64 v[22:23], v[22:23], s[16:17], v[140:141]
	v_fma_f64 v[30:31], v[30:31], s[0:1], v[132:133]
	v_fma_f64 v[26:27], v[26:27], s[22:23], -v[132:133]
	v_fma_f64 v[12:13], v[166:167], s[8:9], -v[140:141]
	v_fma_f64 v[134:135], v[168:169], s[2:3], v[16:17]
	v_fma_f64 v[16:17], v[170:171], s[2:3], v[18:19]
	;; [unrolled: 1-line block ×3, first 2 shown]
	v_mul_f64_e32 v[140:141], s[12:13], v[110:111]
	v_fma_f64 v[136:137], v[136:137], s[18:19], v[0:1]
	v_fma_f64 v[144:145], v[144:145], s[18:19], v[2:3]
	;; [unrolled: 1-line block ×4, first 2 shown]
	s_delay_alu instid0(VALU_DEP_4)
	v_add_f64_e32 v[22:23], v[28:29], v[136:137]
	v_add_f64_e32 v[18:19], v[24:25], v[136:137]
	;; [unrolled: 1-line block ×4, first 2 shown]
	v_mul_f64_e32 v[106:107], s[0:1], v[128:129]
	v_add_f64_e32 v[132:133], v[30:31], v[144:145]
	v_add_f64_e32 v[138:139], v[26:27], v[144:145]
	;; [unrolled: 1-line block ×3, first 2 shown]
	v_fma_f64 v[144:145], v[164:165], s[18:19], v[6:7]
	v_add_f64_e32 v[28:29], v[20:21], v[22:23]
	v_add_f64_e64 v[20:21], v[22:23], -v[20:21]
	v_add_f64_e32 v[24:25], v[16:17], v[18:19]
	v_add_f64_e64 v[16:17], v[18:19], -v[16:17]
	v_fma_f64 v[106:107], v[124:125], s[14:15], -v[106:107]
	v_add_f64_e64 v[12:13], v[8:9], -v[177:178]
	v_add_f64_e32 v[8:9], v[177:178], v[8:9]
	v_add_f64_e64 v[30:31], v[132:133], -v[130:131]
	v_add_f64_e32 v[22:23], v[130:131], v[132:133]
	;; [unrolled: 2-line block ×3, first 2 shown]
	v_add_f64_e64 v[132:133], v[114:115], -v[104:105]
	v_add_f64_e64 v[26:27], v[138:139], -v[134:135]
	v_add_f64_e32 v[18:19], v[134:135], v[138:139]
	v_add_f64_e64 v[134:135], v[104:105], -v[118:119]
	v_mul_f64_e32 v[104:105], s[0:1], v[122:123]
	v_add_f64_e32 v[14:15], v[174:175], v[10:11]
	v_add_f64_e64 v[10:11], v[10:11], -v[174:175]
	v_add_f64_e32 v[152:153], v[106:107], v[144:145]
	v_mul_f64_e32 v[112:113], s[8:9], v[130:131]
	v_add_f64_e32 v[138:139], v[108:109], v[118:119]
	v_mul_f64_e32 v[132:133], s[12:13], v[132:133]
	v_fma_f64 v[108:109], v[130:131], s[8:9], -v[140:141]
	v_mul_f64_e32 v[130:131], s[20:21], v[146:147]
	v_add_f64_e32 v[146:147], v[90:91], v[94:95]
	v_fma_f64 v[104:105], v[120:121], s[14:15], -v[104:105]
	v_add_f64_e64 v[90:91], v[94:95], -v[90:91]
	v_add_f64_e64 v[94:95], v[80:81], -v[100:101]
	v_fma_f64 v[112:113], v[150:151], s[24:25], -v[112:113]
	v_fma_f64 v[110:111], v[136:137], s[2:3], v[108:109]
	v_fma_f64 v[108:109], v[134:135], s[8:9], -v[132:133]
	v_fma_f64 v[116:117], v[120:121], s[22:23], -v[130:131]
	v_add_f64_e32 v[148:149], v[104:105], v[142:143]
	v_fma_f64 v[120:121], v[136:137], s[2:3], v[112:113]
	v_add_f64_e32 v[106:107], v[110:111], v[152:153]
	v_fma_f64 v[108:109], v[138:139], s[2:3], v[108:109]
	v_add_f64_e64 v[110:111], v[152:153], -v[110:111]
	v_add_f64_e64 v[152:153], v[118:119], -v[114:115]
	v_mul_f64_e32 v[114:115], s[8:9], v[134:135]
	v_add_f64_e32 v[116:117], v[116:117], v[142:143]
	v_add_f64_e64 v[104:105], v[148:149], -v[108:109]
	v_add_f64_e32 v[108:109], v[108:109], v[148:149]
	v_add_f64_e64 v[148:149], v[154:155], -v[158:159]
	v_fma_f64 v[114:115], v[152:153], s[24:25], -v[114:115]
	s_delay_alu instid0(VALU_DEP_2) | instskip(NEXT) | instid1(VALU_DEP_1)
	v_mul_f64_e32 v[134:135], s[20:21], v[148:149]
	v_fma_f64 v[118:119], v[124:125], s[22:23], -v[134:135]
	s_delay_alu instid0(VALU_DEP_3) | instskip(NEXT) | instid1(VALU_DEP_2)
	v_fma_f64 v[124:125], v[138:139], s[2:3], v[114:115]
	v_add_f64_e32 v[118:119], v[118:119], v[144:145]
	s_delay_alu instid0(VALU_DEP_2) | instskip(SKIP_2) | instid1(VALU_DEP_4)
	v_add_f64_e32 v[112:113], v[124:125], v[116:117]
	v_add_f64_e64 v[116:117], v[116:117], -v[124:125]
	v_fma_f64 v[124:125], v[152:153], s[16:17], v[132:133]
	v_add_f64_e64 v[114:115], v[118:119], -v[120:121]
	v_add_f64_e32 v[118:119], v[120:121], v[118:119]
	v_fma_f64 v[120:121], v[122:123], s[0:1], v[130:131]
	v_fma_f64 v[122:123], v[128:129], s[0:1], v[134:135]
	;; [unrolled: 1-line block ×4, first 2 shown]
	v_add_f64_e32 v[138:139], v[86:87], v[92:93]
	v_add_f64_e64 v[92:93], v[92:93], -v[86:87]
	v_add_f64_e32 v[130:131], v[120:121], v[142:143]
	v_add_f64_e32 v[132:133], v[122:123], v[144:145]
	v_fma_f64 v[134:135], v[136:137], s[2:3], v[128:129]
	v_add_f64_e32 v[136:137], v[84:85], v[96:97]
	v_add_f64_e32 v[142:143], v[82:83], v[102:103]
	;; [unrolled: 1-line block ×3, first 2 shown]
	v_add_f64_e64 v[88:89], v[88:89], -v[98:99]
	v_add_f64_e64 v[98:99], v[82:83], -v[102:103]
	v_add_f64_e32 v[120:121], v[124:125], v[130:131]
	v_add_f64_e64 v[128:129], v[130:131], -v[124:125]
	v_add_f64_e32 v[124:125], v[80:81], v[100:101]
	;; [unrolled: 2-line block ×3, first 2 shown]
	v_add_f64_e64 v[80:81], v[84:85], -v[96:97]
	v_add_f64_e64 v[82:83], v[90:91], -v[88:89]
	;; [unrolled: 1-line block ×4, first 2 shown]
	v_add_f64_e32 v[84:85], v[90:91], v[88:89]
	v_add_f64_e64 v[88:89], v[88:89], -v[98:99]
	v_add_f64_e32 v[132:133], v[136:137], v[124:125]
	v_add_f64_e64 v[96:97], v[136:137], -v[124:125]
	v_add_f64_e64 v[136:137], v[146:147], -v[144:145]
	;; [unrolled: 1-line block ×4, first 2 shown]
	v_add_f64_e32 v[150:151], v[92:93], v[80:81]
	v_add_f64_e64 v[152:153], v[92:93], -v[80:81]
	v_add_f64_e32 v[156:157], v[84:85], v[98:99]
	v_add_f64_e64 v[98:99], v[98:99], -v[90:91]
	v_add_f64_e32 v[140:141], v[138:139], v[132:133]
	v_add_f64_e32 v[132:133], v[144:145], v[142:143]
	v_mul_f64_e32 v[144:145], s[12:13], v[82:83]
	v_add_f64_e64 v[138:139], v[142:143], -v[146:147]
	v_add_f64_e64 v[142:143], v[94:95], -v[92:93]
	v_mul_f64_e32 v[124:125], s[20:21], v[124:125]
	v_mul_f64_e32 v[90:91], s[8:9], v[154:155]
	;; [unrolled: 1-line block ×4, first 2 shown]
	v_add_f64_e32 v[150:151], v[150:151], v[94:95]
	v_mul_f64_e32 v[152:153], s[12:13], v[152:153]
	v_add_f64_e32 v[148:149], v[146:147], v[132:133]
	ds_load_b128 v[132:135], v176 offset:1792
	v_fma_f64 v[80:81], v[88:89], s[8:9], -v[144:145]
	v_mul_f64_e32 v[138:139], s[20:21], v[138:139]
	v_mul_f64_e32 v[88:89], s[8:9], v[88:89]
	v_fma_f64 v[92:93], v[96:97], s[22:23], -v[124:125]
	v_fma_f64 v[90:91], v[142:143], s[24:25], -v[90:91]
	;; [unrolled: 1-line block ×4, first 2 shown]
	s_wait_dscnt 0x0
	v_add_f64_e32 v[132:133], v[132:133], v[140:141]
	v_add_f64_e32 v[134:135], v[134:135], v[148:149]
	v_fma_f64 v[158:159], v[156:157], s[2:3], v[80:81]
	v_fma_f64 v[94:95], v[102:103], s[22:23], -v[138:139]
	v_fma_f64 v[88:89], v[98:99], s[24:25], -v[88:89]
	v_fma_f64 v[98:99], v[98:99], s[16:17], v[144:145]
	v_fma_f64 v[102:103], v[150:151], s[2:3], v[90:91]
	v_fma_f64 v[80:81], v[154:155], s[8:9], -v[152:153]
	v_fma_f64 v[140:141], v[140:141], s[18:19], v[132:133]
	v_fma_f64 v[148:149], v[148:149], s[18:19], v[134:135]
	;; [unrolled: 1-line block ×3, first 2 shown]
	s_delay_alu instid0(VALU_DEP_4) | instskip(NEXT) | instid1(VALU_DEP_4)
	v_fma_f64 v[164:165], v[150:151], s[2:3], v[80:81]
	v_add_f64_e32 v[92:93], v[92:93], v[140:141]
	v_add_f64_e32 v[84:85], v[82:83], v[140:141]
	;; [unrolled: 1-line block ×4, first 2 shown]
	s_delay_alu instid0(VALU_DEP_4)
	v_add_f64_e32 v[88:89], v[96:97], v[92:93]
	v_add_f64_e64 v[92:93], v[92:93], -v[96:97]
	v_fma_f64 v[96:97], v[100:101], s[0:1], v[124:125]
	v_fma_f64 v[100:101], v[136:137], s[0:1], v[138:139]
	v_add_f64_e64 v[80:81], v[84:85], -v[158:159]
	v_add_f64_e32 v[84:85], v[158:159], v[84:85]
	v_add_f64_e64 v[90:91], v[94:95], -v[102:103]
	v_add_f64_e32 v[94:95], v[102:103], v[94:95]
	v_fma_f64 v[102:103], v[142:143], s[16:17], v[152:153]
	v_add_f64_e32 v[82:83], v[164:165], v[86:87]
	v_add_f64_e64 v[86:87], v[86:87], -v[164:165]
	v_add_f64_e32 v[124:125], v[96:97], v[140:141]
	v_add_f64_e32 v[136:137], v[100:101], v[148:149]
	v_fma_f64 v[100:101], v[156:157], s[2:3], v[98:99]
	v_fma_f64 v[102:103], v[150:151], s[2:3], v[102:103]
	s_delay_alu instid0(VALU_DEP_2) | instskip(SKIP_1) | instid1(VALU_DEP_3)
	v_add_f64_e32 v[96:97], v[100:101], v[124:125]
	v_add_f64_e64 v[100:101], v[124:125], -v[100:101]
	v_add_f64_e64 v[98:99], v[136:137], -v[102:103]
	v_add_f64_e32 v[102:103], v[102:103], v[136:137]
	ds_load_b128 v[136:139], v176 offset:3584
	ds_load_b128 v[140:143], v176 offset:2688
	global_wb scope:SCOPE_SE
	s_wait_dscnt 0x0
	s_barrier_signal -1
	s_barrier_wait -1
	global_inv scope:SCOPE_SE
	ds_store_b128 v176, v[0:3]
	ds_store_b128 v176, v[28:31] offset:896
	ds_store_b128 v176, v[24:27] offset:1792
	;; [unrolled: 1-line block ×13, first 2 shown]
	scratch_load_b32 v0, off, off offset:1692 th:TH_LOAD_LU ; 4-byte Folded Reload
	v_add_f64_e32 v[12:13], v[56:57], v[76:77]
	v_add_f64_e32 v[4:5], v[60:61], v[72:73]
	v_add_f64_e32 v[14:15], v[62:63], v[66:67]
	v_add_f64_e32 v[16:17], v[58:59], v[78:79]
	v_add_f64_e32 v[8:9], v[64:65], v[74:75]
	v_add_f64_e32 v[18:19], v[68:69], v[70:71]
	v_add_f64_e64 v[20:21], v[64:65], -v[74:75]
	v_add_f64_e64 v[22:23], v[70:71], -v[68:69]
	;; [unrolled: 1-line block ×6, first 2 shown]
	s_wait_loadcnt 0x0
	ds_store_b128 v0, v[132:135] offset:12544
	ds_store_b128 v0, v[96:99] offset:13440
	;; [unrolled: 1-line block ×7, first 2 shown]
	v_add_f64_e32 v[0:1], v[4:5], v[12:13]
	v_add_f64_e64 v[56:57], v[4:5], -v[12:13]
	v_add_f64_e64 v[58:59], v[14:15], -v[4:5]
	;; [unrolled: 1-line block ×7, first 2 shown]
	v_add_f64_e32 v[6:7], v[14:15], v[0:1]
	v_add_f64_e32 v[0:1], v[8:9], v[16:17]
	;; [unrolled: 1-line block ×3, first 2 shown]
	v_add_f64_e64 v[20:21], v[20:21], -v[26:27]
	v_add_f64_e64 v[14:15], v[16:17], -v[18:19]
	v_mul_f64_e32 v[64:65], s[12:13], v[4:5]
	v_mul_f64_e32 v[4:5], s[0:1], v[58:59]
	v_add_f64_e64 v[22:23], v[26:27], -v[22:23]
	v_mul_f64_e32 v[70:71], s[12:13], v[70:71]
	v_add_f64_e32 v[10:11], v[18:19], v[0:1]
	v_add_f64_e32 v[0:1], v[140:141], v[6:7]
	;; [unrolled: 1-line block ×3, first 2 shown]
	v_mul_f64_e32 v[26:27], s[20:21], v[12:13]
	v_mul_f64_e32 v[12:13], s[8:9], v[20:21]
	v_fma_f64 v[4:5], v[56:57], s[14:15], -v[4:5]
	v_add_f64_e32 v[2:3], v[142:143], v[10:11]
	v_fma_f64 v[66:67], v[6:7], s[18:19], v[0:1]
	v_mul_f64_e32 v[6:7], s[0:1], v[62:63]
	v_fma_f64 v[16:17], v[56:57], s[22:23], -v[26:27]
	v_fma_f64 v[12:13], v[22:23], s[24:25], -v[12:13]
	v_fma_f64 v[22:23], v[22:23], s[16:17], v[64:65]
	v_fma_f64 v[68:69], v[10:11], s[18:19], v[2:3]
	v_add_f64_e32 v[10:11], v[30:31], v[28:29]
	v_add_f64_e64 v[28:29], v[28:29], -v[24:25]
	v_add_f64_e32 v[8:9], v[4:5], v[66:67]
	v_fma_f64 v[4:5], v[20:21], s[8:9], -v[64:65]
	v_add_f64_e32 v[16:17], v[16:17], v[66:67]
	v_fma_f64 v[20:21], v[74:75], s[2:3], v[12:13]
	v_fma_f64 v[6:7], v[60:61], s[14:15], -v[6:7]
	v_add_f64_e32 v[72:73], v[10:11], v[24:25]
	v_add_f64_e64 v[24:25], v[24:25], -v[30:31]
	v_mul_f64_e32 v[30:31], s[20:21], v[14:15]
	v_mul_f64_e32 v[14:15], s[8:9], v[28:29]
	v_fma_f64 v[76:77], v[74:75], s[2:3], v[4:5]
	v_fma_f64 v[4:5], v[28:29], s[8:9], -v[70:71]
	v_add_f64_e32 v[12:13], v[20:21], v[16:17]
	v_add_f64_e64 v[16:17], v[16:17], -v[20:21]
	v_fma_f64 v[20:21], v[58:59], s[0:1], v[26:27]
	v_add_f64_e32 v[10:11], v[6:7], v[68:69]
	v_fma_f64 v[18:19], v[60:61], s[22:23], -v[30:31]
	v_fma_f64 v[14:15], v[24:25], s[24:25], -v[14:15]
	v_fma_f64 v[26:27], v[62:63], s[0:1], v[30:31]
	v_fma_f64 v[24:25], v[24:25], s[16:17], v[70:71]
	;; [unrolled: 1-line block ×4, first 2 shown]
	v_add_f64_e64 v[4:5], v[8:9], -v[76:77]
	v_add_f64_e32 v[8:9], v[76:77], v[8:9]
	v_add_f64_e32 v[18:19], v[18:19], v[68:69]
	v_fma_f64 v[28:29], v[72:73], s[2:3], v[14:15]
	v_add_f64_e32 v[26:27], v[26:27], v[68:69]
	v_fma_f64 v[56:57], v[72:73], s[2:3], v[24:25]
	v_add_f64_e32 v[6:7], v[78:79], v[10:11]
	v_add_f64_e64 v[10:11], v[10:11], -v[78:79]
	v_add_f64_e64 v[14:15], v[18:19], -v[28:29]
	v_add_f64_e32 v[18:19], v[28:29], v[18:19]
	v_add_f64_e32 v[28:29], v[20:21], v[66:67]
	v_add_f64_e64 v[22:23], v[26:27], -v[56:57]
	v_add_f64_e32 v[26:27], v[56:57], v[26:27]
	s_delay_alu instid0(VALU_DEP_3)
	v_add_f64_e32 v[20:21], v[30:31], v[28:29]
	v_add_f64_e64 v[24:25], v[28:29], -v[30:31]
	ds_store_b128 v183, v[0:3] offset:18816
	ds_store_b128 v183, v[20:23] offset:19712
	;; [unrolled: 1-line block ×7, first 2 shown]
	v_add_f64_e32 v[12:13], v[32:33], v[52:53]
	v_add_f64_e32 v[4:5], v[36:37], v[48:49]
	;; [unrolled: 1-line block ×6, first 2 shown]
	v_add_f64_e64 v[20:21], v[40:41], -v[50:51]
	v_add_f64_e64 v[22:23], v[46:47], -v[44:45]
	;; [unrolled: 1-line block ×6, first 2 shown]
	v_add_f64_e32 v[0:1], v[4:5], v[12:13]
	v_add_f64_e64 v[32:33], v[4:5], -v[12:13]
	v_add_f64_e64 v[34:35], v[14:15], -v[4:5]
	;; [unrolled: 1-line block ×7, first 2 shown]
	v_add_f64_e32 v[6:7], v[14:15], v[0:1]
	v_add_f64_e32 v[0:1], v[8:9], v[16:17]
	;; [unrolled: 1-line block ×3, first 2 shown]
	v_add_f64_e64 v[20:21], v[20:21], -v[26:27]
	v_add_f64_e64 v[14:15], v[16:17], -v[18:19]
	;; [unrolled: 1-line block ×3, first 2 shown]
	v_mul_f64_e32 v[40:41], s[12:13], v[4:5]
	v_mul_f64_e32 v[4:5], s[0:1], v[34:35]
	;; [unrolled: 1-line block ×3, first 2 shown]
	s_mov_b32 s12, 0x372fe950
	s_mov_b32 s13, 0x3fd3c6ef
	v_add_f64_e32 v[10:11], v[18:19], v[0:1]
	v_add_f64_e32 v[0:1], v[136:137], v[6:7]
	;; [unrolled: 1-line block ×3, first 2 shown]
	v_mul_f64_e32 v[26:27], s[20:21], v[12:13]
	v_mul_f64_e32 v[12:13], s[8:9], v[20:21]
	v_fma_f64 v[4:5], v[32:33], s[14:15], -v[4:5]
	v_add_f64_e32 v[2:3], v[138:139], v[10:11]
	v_fma_f64 v[42:43], v[6:7], s[18:19], v[0:1]
	v_mul_f64_e32 v[6:7], s[0:1], v[38:39]
	v_fma_f64 v[16:17], v[32:33], s[22:23], -v[26:27]
	v_fma_f64 v[12:13], v[22:23], s[24:25], -v[12:13]
	v_fma_f64 v[22:23], v[22:23], s[16:17], v[40:41]
	v_fma_f64 v[44:45], v[10:11], s[18:19], v[2:3]
	v_add_f64_e32 v[10:11], v[30:31], v[28:29]
	v_add_f64_e64 v[28:29], v[28:29], -v[24:25]
	v_add_f64_e32 v[8:9], v[4:5], v[42:43]
	v_fma_f64 v[4:5], v[20:21], s[8:9], -v[40:41]
	v_add_f64_e32 v[16:17], v[16:17], v[42:43]
	v_fma_f64 v[20:21], v[50:51], s[2:3], v[12:13]
	v_fma_f64 v[6:7], v[36:37], s[14:15], -v[6:7]
	s_mov_b32 s15, 0x3fee6f0e
	v_add_f64_e32 v[48:49], v[10:11], v[24:25]
	v_add_f64_e64 v[24:25], v[24:25], -v[30:31]
	v_mul_f64_e32 v[30:31], s[20:21], v[14:15]
	v_mul_f64_e32 v[14:15], s[8:9], v[28:29]
	v_fma_f64 v[52:53], v[50:51], s[2:3], v[4:5]
	v_fma_f64 v[4:5], v[28:29], s[8:9], -v[46:47]
	v_add_f64_e32 v[12:13], v[20:21], v[16:17]
	v_add_f64_e64 v[16:17], v[16:17], -v[20:21]
	v_fma_f64 v[20:21], v[34:35], s[0:1], v[26:27]
	v_add_f64_e32 v[10:11], v[6:7], v[44:45]
	s_mov_b32 s9, 0x3fe2cf23
	v_fma_f64 v[18:19], v[36:37], s[22:23], -v[30:31]
	v_fma_f64 v[14:15], v[24:25], s[24:25], -v[14:15]
	v_fma_f64 v[26:27], v[38:39], s[0:1], v[30:31]
	v_fma_f64 v[24:25], v[24:25], s[16:17], v[46:47]
	;; [unrolled: 1-line block ×4, first 2 shown]
	v_add_f64_e64 v[4:5], v[8:9], -v[52:53]
	v_add_f64_e32 v[8:9], v[52:53], v[8:9]
	s_mov_b32 s0, 0x4755a5e
	s_mov_b32 s1, 0xbfe2cf23
	s_wait_alu 0xfffe
	s_mov_b32 s8, s0
	v_add_f64_e32 v[18:19], v[18:19], v[44:45]
	v_fma_f64 v[28:29], v[48:49], s[2:3], v[14:15]
	v_add_f64_e32 v[26:27], v[26:27], v[44:45]
	v_fma_f64 v[32:33], v[48:49], s[2:3], v[24:25]
	s_mov_b32 s2, 0x134454ff
	v_add_f64_e32 v[6:7], v[54:55], v[10:11]
	v_add_f64_e64 v[10:11], v[10:11], -v[54:55]
	s_mov_b32 s3, 0xbfee6f0e
	s_wait_alu 0xfffe
	s_mov_b32 s14, s2
	v_add_f64_e64 v[14:15], v[18:19], -v[28:29]
	v_add_f64_e32 v[18:19], v[28:29], v[18:19]
	v_add_f64_e32 v[28:29], v[20:21], v[42:43]
	v_add_f64_e64 v[22:23], v[26:27], -v[32:33]
	v_add_f64_e32 v[26:27], v[32:33], v[26:27]
	s_delay_alu instid0(VALU_DEP_3)
	v_add_f64_e32 v[20:21], v[30:31], v[28:29]
	v_add_f64_e64 v[24:25], v[28:29], -v[30:31]
	ds_store_b128 v127, v[0:3] offset:25088
	ds_store_b128 v127, v[20:23] offset:25984
	;; [unrolled: 1-line block ×7, first 2 shown]
	global_wb scope:SCOPE_SE
	s_wait_dscnt 0x0
	s_barrier_signal -1
	s_barrier_wait -1
	global_inv scope:SCOPE_SE
	scratch_load_b128 v[6:9], off, off offset:1276 th:TH_LOAD_LU ; 16-byte Folded Reload
	ds_load_b128 v[0:3], v176 offset:6272
	s_wait_dscnt 0x0
	v_mul_f64_e32 v[4:5], v[222:223], v[2:3]
	s_delay_alu instid0(VALU_DEP_1) | instskip(SKIP_1) | instid1(VALU_DEP_1)
	v_fma_f64 v[12:13], v[220:221], v[0:1], v[4:5]
	v_mul_f64_e32 v[0:1], v[222:223], v[0:1]
	v_fma_f64 v[14:15], v[220:221], v[2:3], -v[0:1]
	ds_load_b128 v[0:3], v176 offset:12544
	s_wait_loadcnt_dscnt 0x0
	v_mul_f64_e32 v[4:5], v[8:9], v[2:3]
	s_delay_alu instid0(VALU_DEP_1) | instskip(SKIP_1) | instid1(VALU_DEP_1)
	v_fma_f64 v[16:17], v[6:7], v[0:1], v[4:5]
	v_mul_f64_e32 v[0:1], v[8:9], v[0:1]
	v_fma_f64 v[20:21], v[6:7], v[2:3], -v[0:1]
	scratch_load_b128 v[6:9], off, off offset:1292 th:TH_LOAD_LU ; 16-byte Folded Reload
	ds_load_b128 v[0:3], v176 offset:18816
	s_wait_loadcnt_dscnt 0x0
	v_mul_f64_e32 v[4:5], v[8:9], v[2:3]
	s_delay_alu instid0(VALU_DEP_1) | instskip(SKIP_1) | instid1(VALU_DEP_2)
	v_fma_f64 v[18:19], v[6:7], v[0:1], v[4:5]
	v_mul_f64_e32 v[0:1], v[8:9], v[0:1]
	v_add_f64_e64 v[134:135], v[16:17], -v[18:19]
	s_delay_alu instid0(VALU_DEP_2)
	v_fma_f64 v[22:23], v[6:7], v[2:3], -v[0:1]
	scratch_load_b128 v[6:9], off, off offset:1308 th:TH_LOAD_LU ; 16-byte Folded Reload
	ds_load_b128 v[0:3], v176 offset:25088
	v_add_f64_e64 v[48:49], v[20:21], -v[22:23]
	s_wait_loadcnt_dscnt 0x0
	v_mul_f64_e32 v[4:5], v[8:9], v[2:3]
	s_delay_alu instid0(VALU_DEP_1) | instskip(SKIP_1) | instid1(VALU_DEP_2)
	v_fma_f64 v[24:25], v[6:7], v[0:1], v[4:5]
	v_mul_f64_e32 v[0:1], v[8:9], v[0:1]
	v_add_f64_e64 v[132:133], v[12:13], -v[24:25]
	s_delay_alu instid0(VALU_DEP_2)
	v_fma_f64 v[26:27], v[6:7], v[2:3], -v[0:1]
	scratch_load_b128 v[6:9], off, off offset:1324 th:TH_LOAD_LU ; 16-byte Folded Reload
	ds_load_b128 v[0:3], v176 offset:7168
	v_add_f64_e64 v[30:31], v[14:15], -v[26:27]
	s_wait_loadcnt_dscnt 0x0
	v_mul_f64_e32 v[4:5], v[8:9], v[2:3]
	s_delay_alu instid0(VALU_DEP_1) | instskip(SKIP_1) | instid1(VALU_DEP_1)
	v_fma_f64 v[32:33], v[6:7], v[0:1], v[4:5]
	v_mul_f64_e32 v[0:1], v[8:9], v[0:1]
	v_fma_f64 v[36:37], v[6:7], v[2:3], -v[0:1]
	scratch_load_b128 v[6:9], off, off offset:1340 th:TH_LOAD_LU ; 16-byte Folded Reload
	ds_load_b128 v[0:3], v176 offset:13440
	s_wait_loadcnt_dscnt 0x0
	v_mul_f64_e32 v[4:5], v[8:9], v[2:3]
	s_delay_alu instid0(VALU_DEP_1) | instskip(SKIP_1) | instid1(VALU_DEP_2)
	v_fma_f64 v[34:35], v[6:7], v[0:1], v[4:5]
	v_mul_f64_e32 v[0:1], v[8:9], v[0:1]
	v_add_f64_e64 v[140:141], v[34:35], -v[32:33]
	s_delay_alu instid0(VALU_DEP_2) | instskip(SKIP_4) | instid1(VALU_DEP_1)
	v_fma_f64 v[38:39], v[6:7], v[2:3], -v[0:1]
	scratch_load_b128 v[6:9], off, off offset:1356 th:TH_LOAD_LU ; 16-byte Folded Reload
	ds_load_b128 v[0:3], v176 offset:19712
	s_wait_loadcnt_dscnt 0x0
	v_mul_f64_e32 v[4:5], v[8:9], v[2:3]
	v_fma_f64 v[40:41], v[6:7], v[0:1], v[4:5]
	v_mul_f64_e32 v[0:1], v[8:9], v[0:1]
	s_delay_alu instid0(VALU_DEP_2) | instskip(NEXT) | instid1(VALU_DEP_2)
	v_add_f64_e64 v[138:139], v[34:35], -v[40:41]
	v_fma_f64 v[42:43], v[6:7], v[2:3], -v[0:1]
	scratch_load_b128 v[6:9], off, off offset:1372 th:TH_LOAD_LU ; 16-byte Folded Reload
	ds_load_b128 v[0:3], v176 offset:25984
	s_wait_loadcnt_dscnt 0x0
	v_mul_f64_e32 v[4:5], v[8:9], v[2:3]
	s_delay_alu instid0(VALU_DEP_1) | instskip(SKIP_1) | instid1(VALU_DEP_1)
	v_fma_f64 v[44:45], v[6:7], v[0:1], v[4:5]
	v_mul_f64_e32 v[0:1], v[8:9], v[0:1]
	v_fma_f64 v[46:47], v[6:7], v[2:3], -v[0:1]
	scratch_load_b128 v[6:9], off, off offset:1388 th:TH_LOAD_LU ; 16-byte Folded Reload
	ds_load_b128 v[0:3], v176 offset:8064
	s_wait_loadcnt_dscnt 0x0
	v_mul_f64_e32 v[4:5], v[8:9], v[2:3]
	s_delay_alu instid0(VALU_DEP_1) | instskip(SKIP_1) | instid1(VALU_DEP_1)
	v_fma_f64 v[52:53], v[6:7], v[0:1], v[4:5]
	v_mul_f64_e32 v[0:1], v[8:9], v[0:1]
	;; [unrolled: 8-line block ×7, first 2 shown]
	v_fma_f64 v[114:115], v[6:7], v[2:3], -v[0:1]
	scratch_load_b128 v[6:9], off, off offset:1484 th:TH_LOAD_LU ; 16-byte Folded Reload
	ds_load_b128 v[0:3], v176 offset:21504
	s_wait_loadcnt_dscnt 0x0
	v_mul_f64_e32 v[4:5], v[8:9], v[2:3]
	s_delay_alu instid0(VALU_DEP_1) | instskip(SKIP_1) | instid1(VALU_DEP_2)
	v_fma_f64 v[118:119], v[6:7], v[0:1], v[4:5]
	v_mul_f64_e32 v[0:1], v[8:9], v[0:1]
	v_add_f64_e64 v[146:147], v[130:131], -v[118:119]
	s_delay_alu instid0(VALU_DEP_2) | instskip(SKIP_4) | instid1(VALU_DEP_1)
	v_fma_f64 v[116:117], v[6:7], v[2:3], -v[0:1]
	scratch_load_b128 v[6:9], off, off offset:1500 th:TH_LOAD_LU ; 16-byte Folded Reload
	ds_load_b128 v[0:3], v176 offset:27776
	s_wait_loadcnt_dscnt 0x0
	v_mul_f64_e32 v[4:5], v[8:9], v[2:3]
	v_fma_f64 v[122:123], v[6:7], v[0:1], v[4:5]
	v_mul_f64_e32 v[0:1], v[8:9], v[0:1]
	s_delay_alu instid0(VALU_DEP_2) | instskip(NEXT) | instid1(VALU_DEP_2)
	v_add_f64_e64 v[144:145], v[128:129], -v[122:123]
	v_fma_f64 v[120:121], v[6:7], v[2:3], -v[0:1]
	scratch_load_b128 v[6:9], off, off offset:1516 th:TH_LOAD_LU ; 16-byte Folded Reload
	ds_load_b128 v[0:3], v176 offset:9856
	s_wait_loadcnt_dscnt 0x0
	v_mul_f64_e32 v[4:5], v[8:9], v[2:3]
	s_delay_alu instid0(VALU_DEP_1) | instskip(SKIP_1) | instid1(VALU_DEP_1)
	v_fma_f64 v[100:101], v[6:7], v[0:1], v[4:5]
	v_mul_f64_e32 v[0:1], v[8:9], v[0:1]
	v_fma_f64 v[96:97], v[6:7], v[2:3], -v[0:1]
	scratch_load_b128 v[6:9], off, off offset:1532 th:TH_LOAD_LU ; 16-byte Folded Reload
	ds_load_b128 v[0:3], v176 offset:16128
	s_wait_loadcnt_dscnt 0x0
	v_mul_f64_e32 v[4:5], v[8:9], v[2:3]
	s_delay_alu instid0(VALU_DEP_1) | instskip(SKIP_1) | instid1(VALU_DEP_1)
	v_fma_f64 v[106:107], v[6:7], v[0:1], v[4:5]
	v_mul_f64_e32 v[0:1], v[8:9], v[0:1]
	v_fma_f64 v[98:99], v[6:7], v[2:3], -v[0:1]
	scratch_load_b128 v[6:9], off, off offset:1564 th:TH_LOAD_LU ; 16-byte Folded Reload
	ds_load_b128 v[0:3], v176 offset:22400
	s_wait_loadcnt_dscnt 0x0
	v_mul_f64_e32 v[4:5], v[8:9], v[2:3]
	s_delay_alu instid0(VALU_DEP_1) | instskip(SKIP_1) | instid1(VALU_DEP_2)
	v_fma_f64 v[104:105], v[6:7], v[0:1], v[4:5]
	v_mul_f64_e32 v[0:1], v[8:9], v[0:1]
	v_add_f64_e64 v[150:151], v[106:107], -v[104:105]
	s_delay_alu instid0(VALU_DEP_2) | instskip(SKIP_4) | instid1(VALU_DEP_1)
	v_fma_f64 v[102:103], v[6:7], v[2:3], -v[0:1]
	scratch_load_b128 v[6:9], off, off offset:1548 th:TH_LOAD_LU ; 16-byte Folded Reload
	ds_load_b128 v[0:3], v176 offset:28672
	s_wait_loadcnt_dscnt 0x0
	v_mul_f64_e32 v[4:5], v[8:9], v[2:3]
	v_fma_f64 v[110:111], v[6:7], v[0:1], v[4:5]
	v_mul_f64_e32 v[0:1], v[8:9], v[0:1]
	s_delay_alu instid0(VALU_DEP_2) | instskip(NEXT) | instid1(VALU_DEP_2)
	v_add_f64_e64 v[148:149], v[100:101], -v[110:111]
	v_fma_f64 v[108:109], v[6:7], v[2:3], -v[0:1]
	scratch_load_b128 v[6:9], off, off offset:1580 th:TH_LOAD_LU ; 16-byte Folded Reload
	ds_load_b128 v[0:3], v176 offset:10752
	s_wait_loadcnt_dscnt 0x0
	v_mul_f64_e32 v[4:5], v[8:9], v[2:3]
	s_delay_alu instid0(VALU_DEP_1) | instskip(SKIP_1) | instid1(VALU_DEP_1)
	v_fma_f64 v[84:85], v[6:7], v[0:1], v[4:5]
	v_mul_f64_e32 v[0:1], v[8:9], v[0:1]
	v_fma_f64 v[80:81], v[6:7], v[2:3], -v[0:1]
	scratch_load_b128 v[6:9], off, off offset:1612 th:TH_LOAD_LU ; 16-byte Folded Reload
	ds_load_b128 v[0:3], v176 offset:17024
	s_wait_loadcnt_dscnt 0x0
	v_mul_f64_e32 v[4:5], v[8:9], v[2:3]
	s_delay_alu instid0(VALU_DEP_1) | instskip(SKIP_1) | instid1(VALU_DEP_1)
	v_fma_f64 v[88:89], v[6:7], v[0:1], v[4:5]
	v_mul_f64_e32 v[0:1], v[8:9], v[0:1]
	v_fma_f64 v[82:83], v[6:7], v[2:3], -v[0:1]
	scratch_load_b128 v[6:9], off, off offset:1596 th:TH_LOAD_LU ; 16-byte Folded Reload
	ds_load_b128 v[0:3], v176 offset:23296
	s_wait_loadcnt_dscnt 0x0
	v_mul_f64_e32 v[4:5], v[8:9], v[2:3]
	s_delay_alu instid0(VALU_DEP_1) | instskip(SKIP_1) | instid1(VALU_DEP_2)
	v_fma_f64 v[90:91], v[6:7], v[0:1], v[4:5]
	v_mul_f64_e32 v[0:1], v[8:9], v[0:1]
	v_add_f64_e64 v[154:155], v[88:89], -v[90:91]
	s_delay_alu instid0(VALU_DEP_2) | instskip(SKIP_4) | instid1(VALU_DEP_1)
	v_fma_f64 v[86:87], v[6:7], v[2:3], -v[0:1]
	scratch_load_b128 v[6:9], off, off offset:1628 th:TH_LOAD_LU ; 16-byte Folded Reload
	ds_load_b128 v[0:3], v176 offset:29568
	s_wait_loadcnt_dscnt 0x0
	v_mul_f64_e32 v[4:5], v[8:9], v[2:3]
	v_fma_f64 v[94:95], v[6:7], v[0:1], v[4:5]
	v_mul_f64_e32 v[0:1], v[8:9], v[0:1]
	s_delay_alu instid0(VALU_DEP_1) | instskip(SKIP_4) | instid1(VALU_DEP_1)
	v_fma_f64 v[92:93], v[6:7], v[2:3], -v[0:1]
	scratch_load_b128 v[6:9], off, off offset:1644 th:TH_LOAD_LU ; 16-byte Folded Reload
	ds_load_b128 v[0:3], v176 offset:11648
	s_wait_loadcnt_dscnt 0x0
	v_mul_f64_e32 v[4:5], v[8:9], v[2:3]
	v_fma_f64 v[68:69], v[6:7], v[0:1], v[4:5]
	v_mul_f64_e32 v[0:1], v[8:9], v[0:1]
	s_delay_alu instid0(VALU_DEP_1) | instskip(SKIP_4) | instid1(VALU_DEP_1)
	;; [unrolled: 8-line block ×3, first 2 shown]
	v_fma_f64 v[66:67], v[6:7], v[2:3], -v[0:1]
	scratch_load_b128 v[6:9], off, off offset:1676 th:TH_LOAD_LU ; 16-byte Folded Reload
	ds_load_b128 v[0:3], v176 offset:24192
	s_wait_loadcnt_dscnt 0x0
	v_mul_f64_e32 v[4:5], v[8:9], v[2:3]
	v_fma_f64 v[72:73], v[6:7], v[0:1], v[4:5]
	v_mul_f64_e32 v[0:1], v[8:9], v[0:1]
	s_delay_alu instid0(VALU_DEP_1) | instskip(SKIP_3) | instid1(VALU_DEP_1)
	v_fma_f64 v[70:71], v[6:7], v[2:3], -v[0:1]
	ds_load_b128 v[0:3], v176 offset:30464
	s_wait_dscnt 0x0
	v_mul_f64_e32 v[4:5], v[162:163], v[2:3]
	v_fma_f64 v[78:79], v[160:161], v[0:1], v[4:5]
	v_mul_f64_e32 v[0:1], v[162:163], v[0:1]
	ds_load_b128 v[4:7], v176
	v_add_f64_e64 v[158:159], v[68:69], -v[78:79]
	v_fma_f64 v[76:77], v[160:161], v[2:3], -v[0:1]
	v_add_f64_e64 v[0:1], v[12:13], -v[16:17]
	v_add_f64_e64 v[2:3], v[24:25], -v[18:19]
	s_delay_alu instid0(VALU_DEP_1) | instskip(SKIP_2) | instid1(VALU_DEP_1)
	v_add_f64_e32 v[8:9], v[0:1], v[2:3]
	v_add_f64_e64 v[0:1], v[14:15], -v[20:21]
	v_add_f64_e64 v[2:3], v[26:27], -v[22:23]
	v_add_f64_e32 v[10:11], v[0:1], v[2:3]
	v_add_f64_e32 v[0:1], v[16:17], v[18:19]
	;; [unrolled: 1-line block ×3, first 2 shown]
	s_wait_dscnt 0x0
	s_delay_alu instid0(VALU_DEP_2) | instskip(NEXT) | instid1(VALU_DEP_2)
	v_fma_f64 v[28:29], v[0:1], -0.5, v[4:5]
	v_fma_f64 v[50:51], v[2:3], -0.5, v[6:7]
	s_delay_alu instid0(VALU_DEP_2) | instskip(SKIP_1) | instid1(VALU_DEP_2)
	v_fma_f64 v[0:1], v[30:31], s[2:3], v[28:29]
	s_wait_alu 0xfffe
	v_fma_f64 v[2:3], v[132:133], s[14:15], v[50:51]
	v_fma_f64 v[28:29], v[30:31], s[14:15], v[28:29]
	;; [unrolled: 1-line block ×3, first 2 shown]
	s_delay_alu instid0(VALU_DEP_4) | instskip(NEXT) | instid1(VALU_DEP_4)
	v_fma_f64 v[0:1], v[48:49], s[0:1], v[0:1]
	v_fma_f64 v[2:3], v[134:135], s[8:9], v[2:3]
	s_delay_alu instid0(VALU_DEP_4) | instskip(NEXT) | instid1(VALU_DEP_4)
	v_fma_f64 v[28:29], v[48:49], s[8:9], v[28:29]
	v_fma_f64 v[50:51], v[134:135], s[0:1], v[50:51]
	;; [unrolled: 3-line block ×4, first 2 shown]
	v_add_f64_e32 v[28:29], v[12:13], v[24:25]
	v_add_f64_e32 v[50:51], v[14:15], v[26:27]
	s_delay_alu instid0(VALU_DEP_2) | instskip(NEXT) | instid1(VALU_DEP_2)
	v_fma_f64 v[28:29], v[28:29], -0.5, v[4:5]
	v_fma_f64 v[50:51], v[50:51], -0.5, v[6:7]
	v_add_f64_e32 v[4:5], v[4:5], v[12:13]
	v_add_f64_e32 v[6:7], v[6:7], v[14:15]
	v_add_f64_e64 v[12:13], v[16:17], -v[12:13]
	v_fma_f64 v[136:137], v[48:49], s[14:15], v[28:29]
	v_fma_f64 v[28:29], v[48:49], s[2:3], v[28:29]
	v_add_f64_e32 v[4:5], v[4:5], v[16:17]
	v_add_f64_e32 v[6:7], v[6:7], v[20:21]
	v_add_f64_e64 v[48:49], v[18:19], -v[24:25]
	s_delay_alu instid0(VALU_DEP_3) | instskip(NEXT) | instid1(VALU_DEP_3)
	v_add_f64_e32 v[4:5], v[4:5], v[18:19]
	v_add_f64_e32 v[6:7], v[6:7], v[22:23]
	s_delay_alu instid0(VALU_DEP_2) | instskip(NEXT) | instid1(VALU_DEP_2)
	v_add_f64_e32 v[16:17], v[4:5], v[24:25]
	v_add_f64_e32 v[18:19], v[6:7], v[26:27]
	v_add_f64_e64 v[4:5], v[20:21], -v[14:15]
	v_add_f64_e64 v[6:7], v[22:23], -v[26:27]
	v_fma_f64 v[14:15], v[134:135], s[2:3], v[50:51]
	v_fma_f64 v[20:21], v[134:135], s[14:15], v[50:51]
	v_add_f64_e32 v[22:23], v[12:13], v[48:49]
	v_fma_f64 v[12:13], v[30:31], s[0:1], v[136:137]
	v_fma_f64 v[24:25], v[30:31], s[8:9], v[28:29]
	ds_load_b128 v[28:31], v176 offset:896
	v_add_f64_e64 v[50:51], v[36:37], -v[46:47]
	v_add_f64_e64 v[136:137], v[32:33], -v[44:45]
	v_add_f64_e32 v[6:7], v[4:5], v[6:7]
	v_fma_f64 v[4:5], v[132:133], s[8:9], v[14:15]
	v_fma_f64 v[20:21], v[132:133], s[0:1], v[20:21]
	v_add_f64_e64 v[132:133], v[38:39], -v[42:43]
	v_fma_f64 v[12:13], v[22:23], s[12:13], v[12:13]
	s_delay_alu instid0(VALU_DEP_4) | instskip(SKIP_4) | instid1(VALU_DEP_1)
	v_fma_f64 v[14:15], v[6:7], s[12:13], v[4:5]
	v_fma_f64 v[4:5], v[22:23], s[12:13], v[24:25]
	;; [unrolled: 1-line block ×3, first 2 shown]
	v_add_f64_e64 v[20:21], v[32:33], -v[34:35]
	v_add_f64_e64 v[22:23], v[44:45], -v[40:41]
	v_add_f64_e32 v[24:25], v[20:21], v[22:23]
	v_add_f64_e64 v[20:21], v[36:37], -v[38:39]
	v_add_f64_e64 v[22:23], v[46:47], -v[42:43]
	s_delay_alu instid0(VALU_DEP_1) | instskip(SKIP_3) | instid1(VALU_DEP_2)
	v_add_f64_e32 v[26:27], v[20:21], v[22:23]
	v_add_f64_e32 v[20:21], v[34:35], v[40:41]
	;; [unrolled: 1-line block ×3, first 2 shown]
	s_wait_dscnt 0x0
	v_fma_f64 v[48:49], v[20:21], -0.5, v[28:29]
	s_delay_alu instid0(VALU_DEP_2) | instskip(NEXT) | instid1(VALU_DEP_2)
	v_fma_f64 v[134:135], v[22:23], -0.5, v[30:31]
	v_fma_f64 v[20:21], v[50:51], s[2:3], v[48:49]
	s_delay_alu instid0(VALU_DEP_2) | instskip(SKIP_2) | instid1(VALU_DEP_4)
	v_fma_f64 v[22:23], v[136:137], s[14:15], v[134:135]
	v_fma_f64 v[48:49], v[50:51], s[14:15], v[48:49]
	;; [unrolled: 1-line block ×4, first 2 shown]
	s_delay_alu instid0(VALU_DEP_4) | instskip(NEXT) | instid1(VALU_DEP_4)
	v_fma_f64 v[22:23], v[138:139], s[8:9], v[22:23]
	v_fma_f64 v[48:49], v[132:133], s[8:9], v[48:49]
	s_delay_alu instid0(VALU_DEP_4) | instskip(NEXT) | instid1(VALU_DEP_4)
	v_fma_f64 v[134:135], v[138:139], s[0:1], v[134:135]
	v_fma_f64 v[20:21], v[24:25], s[12:13], v[20:21]
	;; [unrolled: 3-line block ×3, first 2 shown]
	s_delay_alu instid0(VALU_DEP_4) | instskip(SKIP_2) | instid1(VALU_DEP_2)
	v_fma_f64 v[26:27], v[26:27], s[12:13], v[134:135]
	v_add_f64_e32 v[48:49], v[32:33], v[44:45]
	v_add_f64_e32 v[134:135], v[36:37], v[46:47]
	v_fma_f64 v[48:49], v[48:49], -0.5, v[28:29]
	s_delay_alu instid0(VALU_DEP_2) | instskip(SKIP_2) | instid1(VALU_DEP_4)
	v_fma_f64 v[134:135], v[134:135], -0.5, v[30:31]
	v_add_f64_e32 v[28:29], v[28:29], v[32:33]
	v_add_f64_e32 v[30:31], v[30:31], v[36:37]
	v_fma_f64 v[142:143], v[132:133], s[14:15], v[48:49]
	v_fma_f64 v[48:49], v[132:133], s[2:3], v[48:49]
	s_delay_alu instid0(VALU_DEP_4) | instskip(NEXT) | instid1(VALU_DEP_4)
	v_add_f64_e32 v[28:29], v[28:29], v[34:35]
	v_add_f64_e32 v[30:31], v[30:31], v[38:39]
	s_delay_alu instid0(VALU_DEP_2) | instskip(NEXT) | instid1(VALU_DEP_2)
	v_add_f64_e32 v[28:29], v[28:29], v[40:41]
	v_add_f64_e32 v[30:31], v[30:31], v[42:43]
	v_add_f64_e64 v[40:41], v[40:41], -v[44:45]
	s_delay_alu instid0(VALU_DEP_3) | instskip(NEXT) | instid1(VALU_DEP_3)
	v_add_f64_e32 v[32:33], v[28:29], v[44:45]
	v_add_f64_e32 v[34:35], v[30:31], v[46:47]
	v_add_f64_e64 v[28:29], v[38:39], -v[36:37]
	v_add_f64_e64 v[30:31], v[42:43], -v[46:47]
	v_fma_f64 v[36:37], v[138:139], s[2:3], v[134:135]
	v_fma_f64 v[38:39], v[138:139], s[14:15], v[134:135]
	v_add_f64_e32 v[40:41], v[140:141], v[40:41]
	v_fma_f64 v[42:43], v[50:51], s[0:1], v[142:143]
	v_fma_f64 v[44:45], v[50:51], s[8:9], v[48:49]
	ds_load_b128 v[48:51], v176 offset:1792
	v_add_f64_e64 v[134:135], v[54:55], -v[126:127]
	v_add_f64_e64 v[140:141], v[52:53], -v[124:125]
	;; [unrolled: 1-line block ×3, first 2 shown]
	v_add_f64_e32 v[30:31], v[28:29], v[30:31]
	v_fma_f64 v[28:29], v[136:137], s[8:9], v[36:37]
	v_fma_f64 v[46:47], v[136:137], s[0:1], v[38:39]
	v_add_f64_e64 v[136:137], v[58:59], -v[62:63]
	v_fma_f64 v[36:37], v[40:41], s[12:13], v[42:43]
	v_add_f64_e64 v[42:43], v[124:125], -v[60:61]
	v_fma_f64 v[38:39], v[30:31], s[12:13], v[28:29]
	v_fma_f64 v[28:29], v[40:41], s[12:13], v[44:45]
	v_add_f64_e64 v[40:41], v[52:53], -v[56:57]
	v_add_f64_e64 v[44:45], v[126:127], -v[62:63]
	v_fma_f64 v[30:31], v[30:31], s[12:13], v[46:47]
	v_add_f64_e32 v[46:47], v[58:59], v[62:63]
	s_delay_alu instid0(VALU_DEP_4) | instskip(SKIP_2) | instid1(VALU_DEP_3)
	v_add_f64_e32 v[40:41], v[40:41], v[42:43]
	v_add_f64_e64 v[42:43], v[54:55], -v[58:59]
	s_wait_dscnt 0x0
	v_fma_f64 v[138:139], v[46:47], -0.5, v[50:51]
	s_delay_alu instid0(VALU_DEP_2) | instskip(SKIP_1) | instid1(VALU_DEP_3)
	v_add_f64_e32 v[42:43], v[42:43], v[44:45]
	v_add_f64_e32 v[44:45], v[56:57], v[60:61]
	v_fma_f64 v[46:47], v[140:141], s[14:15], v[138:139]
	v_fma_f64 v[138:139], v[140:141], s[2:3], v[138:139]
	s_delay_alu instid0(VALU_DEP_3) | instskip(NEXT) | instid1(VALU_DEP_3)
	v_fma_f64 v[132:133], v[44:45], -0.5, v[48:49]
	v_fma_f64 v[46:47], v[142:143], s[8:9], v[46:47]
	s_delay_alu instid0(VALU_DEP_3) | instskip(NEXT) | instid1(VALU_DEP_3)
	v_fma_f64 v[138:139], v[142:143], s[0:1], v[138:139]
	v_fma_f64 v[44:45], v[134:135], s[2:3], v[132:133]
	;; [unrolled: 1-line block ×3, first 2 shown]
	s_delay_alu instid0(VALU_DEP_4) | instskip(NEXT) | instid1(VALU_DEP_4)
	v_fma_f64 v[46:47], v[42:43], s[12:13], v[46:47]
	v_fma_f64 v[42:43], v[42:43], s[12:13], v[138:139]
	v_add_f64_e32 v[138:139], v[54:55], v[126:127]
	v_fma_f64 v[44:45], v[136:137], s[0:1], v[44:45]
	v_fma_f64 v[132:133], v[136:137], s[8:9], v[132:133]
	s_delay_alu instid0(VALU_DEP_3)
	v_fma_f64 v[138:139], v[138:139], -0.5, v[50:51]
	v_add_f64_e32 v[50:51], v[50:51], v[54:55]
	v_add_f64_e64 v[54:55], v[58:59], -v[54:55]
	v_fma_f64 v[44:45], v[40:41], s[12:13], v[44:45]
	v_fma_f64 v[40:41], v[40:41], s[12:13], v[132:133]
	v_add_f64_e32 v[132:133], v[52:53], v[124:125]
	v_add_f64_e32 v[50:51], v[50:51], v[58:59]
	v_add_f64_e64 v[58:59], v[62:63], -v[126:127]
	s_delay_alu instid0(VALU_DEP_3)
	v_fma_f64 v[132:133], v[132:133], -0.5, v[48:49]
	v_add_f64_e32 v[48:49], v[48:49], v[52:53]
	v_add_f64_e64 v[52:53], v[56:57], -v[52:53]
	v_add_f64_e32 v[50:51], v[50:51], v[62:63]
	v_fma_f64 v[62:63], v[142:143], s[2:3], v[138:139]
	v_add_f64_e32 v[58:59], v[54:55], v[58:59]
	v_add_f64_e32 v[48:49], v[48:49], v[56:57]
	v_fma_f64 v[56:57], v[136:137], s[14:15], v[132:133]
	v_fma_f64 v[132:133], v[136:137], s[2:3], v[132:133]
	;; [unrolled: 1-line block ×3, first 2 shown]
	v_add_f64_e32 v[50:51], v[50:51], v[126:127]
	v_add_f64_e32 v[48:49], v[48:49], v[60:61]
	v_add_f64_e64 v[60:61], v[60:61], -v[124:125]
	s_delay_alu instid0(VALU_DEP_4) | instskip(NEXT) | instid1(VALU_DEP_3)
	v_fma_f64 v[54:55], v[58:59], s[12:13], v[54:55]
	v_add_f64_e32 v[48:49], v[48:49], v[124:125]
	v_fma_f64 v[124:125], v[142:143], s[14:15], v[138:139]
	s_delay_alu instid0(VALU_DEP_4)
	v_add_f64_e32 v[60:61], v[52:53], v[60:61]
	v_fma_f64 v[52:53], v[134:135], s[0:1], v[56:57]
	v_fma_f64 v[56:57], v[134:135], s[8:9], v[132:133]
	v_add_f64_e64 v[138:139], v[112:113], -v[120:121]
	v_fma_f64 v[62:63], v[140:141], s[0:1], v[124:125]
	ds_load_b128 v[124:127], v176 offset:2688
	v_fma_f64 v[52:53], v[60:61], s[12:13], v[52:53]
	v_fma_f64 v[56:57], v[60:61], s[12:13], v[56:57]
	v_add_f64_e64 v[60:61], v[128:129], -v[130:131]
	v_add_f64_e64 v[140:141], v[114:115], -v[116:117]
	v_fma_f64 v[58:59], v[58:59], s[12:13], v[62:63]
	v_add_f64_e64 v[62:63], v[122:123], -v[118:119]
	s_delay_alu instid0(VALU_DEP_1) | instskip(SKIP_2) | instid1(VALU_DEP_1)
	v_add_f64_e32 v[132:133], v[60:61], v[62:63]
	v_add_f64_e64 v[60:61], v[112:113], -v[114:115]
	v_add_f64_e64 v[62:63], v[120:121], -v[116:117]
	v_add_f64_e32 v[134:135], v[60:61], v[62:63]
	v_add_f64_e32 v[60:61], v[130:131], v[118:119]
	;; [unrolled: 1-line block ×3, first 2 shown]
	s_wait_dscnt 0x0
	s_delay_alu instid0(VALU_DEP_2) | instskip(NEXT) | instid1(VALU_DEP_2)
	v_fma_f64 v[136:137], v[60:61], -0.5, v[124:125]
	v_fma_f64 v[142:143], v[62:63], -0.5, v[126:127]
	s_delay_alu instid0(VALU_DEP_2) | instskip(NEXT) | instid1(VALU_DEP_2)
	v_fma_f64 v[60:61], v[138:139], s[2:3], v[136:137]
	v_fma_f64 v[62:63], v[144:145], s[14:15], v[142:143]
	;; [unrolled: 1-line block ×4, first 2 shown]
	s_delay_alu instid0(VALU_DEP_4) | instskip(NEXT) | instid1(VALU_DEP_4)
	v_fma_f64 v[60:61], v[140:141], s[0:1], v[60:61]
	v_fma_f64 v[62:63], v[146:147], s[8:9], v[62:63]
	s_delay_alu instid0(VALU_DEP_4) | instskip(NEXT) | instid1(VALU_DEP_4)
	v_fma_f64 v[136:137], v[140:141], s[8:9], v[136:137]
	v_fma_f64 v[142:143], v[146:147], s[0:1], v[142:143]
	;; [unrolled: 3-line block ×4, first 2 shown]
	v_add_f64_e32 v[136:137], v[128:129], v[122:123]
	v_add_f64_e32 v[142:143], v[112:113], v[120:121]
	s_delay_alu instid0(VALU_DEP_2) | instskip(NEXT) | instid1(VALU_DEP_2)
	v_fma_f64 v[136:137], v[136:137], -0.5, v[124:125]
	v_fma_f64 v[142:143], v[142:143], -0.5, v[126:127]
	v_add_f64_e32 v[124:125], v[124:125], v[128:129]
	v_add_f64_e32 v[126:127], v[126:127], v[112:113]
	v_add_f64_e64 v[128:129], v[130:131], -v[128:129]
	v_add_f64_e64 v[112:113], v[114:115], -v[112:113]
	s_delay_alu instid0(VALU_DEP_4) | instskip(NEXT) | instid1(VALU_DEP_4)
	v_add_f64_e32 v[124:125], v[124:125], v[130:131]
	v_add_f64_e32 v[126:127], v[126:127], v[114:115]
	v_fma_f64 v[130:131], v[140:141], s[14:15], v[136:137]
	v_fma_f64 v[136:137], v[140:141], s[2:3], v[136:137]
	v_add_f64_e64 v[114:115], v[116:117], -v[120:121]
	v_add_f64_e32 v[124:125], v[124:125], v[118:119]
	v_add_f64_e32 v[126:127], v[126:127], v[116:117]
	v_add_f64_e64 v[118:119], v[118:119], -v[122:123]
	v_fma_f64 v[116:117], v[146:147], s[2:3], v[142:143]
	s_delay_alu instid0(VALU_DEP_4) | instskip(NEXT) | instid1(VALU_DEP_4)
	v_add_f64_e32 v[122:123], v[124:125], v[122:123]
	v_add_f64_e32 v[124:125], v[126:127], v[120:121]
	v_fma_f64 v[120:121], v[146:147], s[14:15], v[142:143]
	v_add_f64_e32 v[118:119], v[128:129], v[118:119]
	v_fma_f64 v[126:127], v[138:139], s[0:1], v[130:131]
	v_fma_f64 v[128:129], v[138:139], s[8:9], v[136:137]
	v_add_f64_e32 v[130:131], v[112:113], v[114:115]
	v_fma_f64 v[114:115], v[144:145], s[8:9], v[116:117]
	v_add_f64_e32 v[136:137], v[106:107], v[104:105]
	v_add_f64_e32 v[138:139], v[98:99], v[102:103]
	v_add_f64_e64 v[146:147], v[98:99], -v[102:103]
	v_fma_f64 v[120:121], v[144:145], s[0:1], v[120:121]
	v_add_f64_e64 v[144:145], v[96:97], -v[108:109]
	v_fma_f64 v[112:113], v[118:119], s[12:13], v[126:127]
	v_fma_f64 v[116:117], v[118:119], s[12:13], v[128:129]
	v_add_f64_e64 v[126:127], v[110:111], -v[104:105]
	v_add_f64_e64 v[128:129], v[108:109], -v[102:103]
	v_fma_f64 v[114:115], v[130:131], s[12:13], v[114:115]
	v_fma_f64 v[118:119], v[130:131], s[12:13], v[120:121]
	v_add_f64_e64 v[120:121], v[100:101], -v[106:107]
	s_delay_alu instid0(VALU_DEP_1) | instskip(SKIP_1) | instid1(VALU_DEP_1)
	v_add_f64_e32 v[120:121], v[120:121], v[126:127]
	v_add_f64_e64 v[126:127], v[96:97], -v[98:99]
	v_add_f64_e32 v[130:131], v[126:127], v[128:129]
	ds_load_b128 v[126:129], v176 offset:3584
	s_wait_dscnt 0x0
	v_fma_f64 v[140:141], v[136:137], -0.5, v[126:127]
	v_fma_f64 v[142:143], v[138:139], -0.5, v[128:129]
	s_delay_alu instid0(VALU_DEP_2) | instskip(NEXT) | instid1(VALU_DEP_2)
	v_fma_f64 v[136:137], v[144:145], s[2:3], v[140:141]
	v_fma_f64 v[138:139], v[148:149], s[14:15], v[142:143]
	;; [unrolled: 1-line block ×4, first 2 shown]
	s_delay_alu instid0(VALU_DEP_4) | instskip(NEXT) | instid1(VALU_DEP_4)
	v_fma_f64 v[136:137], v[146:147], s[0:1], v[136:137]
	v_fma_f64 v[138:139], v[150:151], s[8:9], v[138:139]
	s_delay_alu instid0(VALU_DEP_4) | instskip(NEXT) | instid1(VALU_DEP_4)
	v_fma_f64 v[140:141], v[146:147], s[8:9], v[140:141]
	v_fma_f64 v[142:143], v[150:151], s[0:1], v[142:143]
	;; [unrolled: 3-line block ×4, first 2 shown]
	v_add_f64_e32 v[120:121], v[100:101], v[110:111]
	v_add_f64_e32 v[130:131], v[96:97], v[108:109]
	s_delay_alu instid0(VALU_DEP_2) | instskip(NEXT) | instid1(VALU_DEP_2)
	v_fma_f64 v[120:121], v[120:121], -0.5, v[126:127]
	v_fma_f64 v[130:131], v[130:131], -0.5, v[128:129]
	v_add_f64_e32 v[126:127], v[126:127], v[100:101]
	v_add_f64_e32 v[128:129], v[128:129], v[96:97]
	v_add_f64_e64 v[100:101], v[106:107], -v[100:101]
	v_add_f64_e64 v[96:97], v[98:99], -v[96:97]
	v_fma_f64 v[152:153], v[146:147], s[14:15], v[120:121]
	v_fma_f64 v[120:121], v[146:147], s[2:3], v[120:121]
	v_add_f64_e32 v[126:127], v[126:127], v[106:107]
	v_add_f64_e32 v[106:107], v[128:129], v[98:99]
	v_add_f64_e64 v[128:129], v[104:105], -v[110:111]
	v_add_f64_e64 v[98:99], v[102:103], -v[108:109]
	v_fma_f64 v[120:121], v[144:145], s[8:9], v[120:121]
	v_add_f64_e32 v[126:127], v[126:127], v[104:105]
	v_add_f64_e32 v[106:107], v[106:107], v[102:103]
	v_fma_f64 v[102:103], v[150:151], s[2:3], v[130:131]
	v_add_f64_e32 v[100:101], v[100:101], v[128:129]
	v_add_f64_e32 v[128:129], v[82:83], v[86:87]
	;; [unrolled: 1-line block ×4, first 2 shown]
	v_fma_f64 v[108:109], v[150:151], s[14:15], v[130:131]
	v_fma_f64 v[110:111], v[144:145], s[0:1], v[152:153]
	v_add_f64_e32 v[126:127], v[96:97], v[98:99]
	v_fma_f64 v[98:99], v[148:149], s[8:9], v[102:103]
	v_add_f64_e64 v[152:153], v[84:85], -v[94:95]
	v_add_f64_e64 v[150:151], v[82:83], -v[86:87]
	v_fma_f64 v[102:103], v[148:149], s[0:1], v[108:109]
	v_fma_f64 v[96:97], v[100:101], s[12:13], v[110:111]
	v_add_f64_e64 v[108:109], v[84:85], -v[88:89]
	v_add_f64_e64 v[110:111], v[94:95], -v[90:91]
	v_fma_f64 v[100:101], v[100:101], s[12:13], v[120:121]
	v_fma_f64 v[98:99], v[126:127], s[12:13], v[98:99]
	v_add_f64_e64 v[148:149], v[80:81], -v[92:93]
	v_fma_f64 v[102:103], v[126:127], s[12:13], v[102:103]
	v_add_f64_e32 v[126:127], v[88:89], v[90:91]
	v_add_f64_e32 v[120:121], v[108:109], v[110:111]
	v_add_f64_e64 v[108:109], v[80:81], -v[82:83]
	v_add_f64_e64 v[110:111], v[92:93], -v[86:87]
	s_delay_alu instid0(VALU_DEP_1) | instskip(SKIP_4) | instid1(VALU_DEP_2)
	v_add_f64_e32 v[130:131], v[108:109], v[110:111]
	ds_load_b128 v[108:111], v176 offset:4480
	s_wait_dscnt 0x0
	v_fma_f64 v[144:145], v[126:127], -0.5, v[108:109]
	v_fma_f64 v[146:147], v[128:129], -0.5, v[110:111]
	v_fma_f64 v[126:127], v[148:149], s[2:3], v[144:145]
	s_delay_alu instid0(VALU_DEP_2) | instskip(SKIP_2) | instid1(VALU_DEP_4)
	v_fma_f64 v[128:129], v[152:153], s[14:15], v[146:147]
	v_fma_f64 v[144:145], v[148:149], s[14:15], v[144:145]
	;; [unrolled: 1-line block ×4, first 2 shown]
	s_delay_alu instid0(VALU_DEP_4) | instskip(NEXT) | instid1(VALU_DEP_4)
	v_fma_f64 v[128:129], v[154:155], s[8:9], v[128:129]
	v_fma_f64 v[144:145], v[150:151], s[8:9], v[144:145]
	s_delay_alu instid0(VALU_DEP_4) | instskip(NEXT) | instid1(VALU_DEP_4)
	v_fma_f64 v[146:147], v[154:155], s[0:1], v[146:147]
	v_fma_f64 v[126:127], v[120:121], s[12:13], v[126:127]
	;; [unrolled: 3-line block ×3, first 2 shown]
	s_delay_alu instid0(VALU_DEP_4) | instskip(SKIP_2) | instid1(VALU_DEP_2)
	v_fma_f64 v[146:147], v[130:131], s[12:13], v[146:147]
	v_add_f64_e32 v[120:121], v[84:85], v[94:95]
	v_add_f64_e32 v[130:131], v[80:81], v[92:93]
	v_fma_f64 v[120:121], v[120:121], -0.5, v[108:109]
	s_delay_alu instid0(VALU_DEP_2)
	v_fma_f64 v[130:131], v[130:131], -0.5, v[110:111]
	v_add_f64_e32 v[108:109], v[108:109], v[84:85]
	v_add_f64_e32 v[110:111], v[110:111], v[80:81]
	v_add_f64_e64 v[84:85], v[88:89], -v[84:85]
	v_add_f64_e64 v[80:81], v[82:83], -v[80:81]
	v_fma_f64 v[156:157], v[150:151], s[14:15], v[120:121]
	v_fma_f64 v[120:121], v[150:151], s[2:3], v[120:121]
	v_add_f64_e32 v[108:109], v[108:109], v[88:89]
	v_add_f64_e32 v[88:89], v[110:111], v[82:83]
	v_add_f64_e64 v[150:151], v[90:91], -v[94:95]
	v_add_f64_e64 v[82:83], v[86:87], -v[92:93]
	s_delay_alu instid0(VALU_DEP_4) | instskip(NEXT) | instid1(VALU_DEP_4)
	v_add_f64_e32 v[108:109], v[108:109], v[90:91]
	v_add_f64_e32 v[110:111], v[88:89], v[86:87]
	v_fma_f64 v[86:87], v[154:155], s[2:3], v[130:131]
	v_add_f64_e32 v[84:85], v[84:85], v[150:151]
	s_delay_alu instid0(VALU_DEP_4) | instskip(NEXT) | instid1(VALU_DEP_4)
	v_add_f64_e32 v[88:89], v[108:109], v[94:95]
	v_add_f64_e32 v[90:91], v[110:111], v[92:93]
	v_fma_f64 v[92:93], v[154:155], s[14:15], v[130:131]
	v_fma_f64 v[94:95], v[148:149], s[0:1], v[156:157]
	v_add_f64_e32 v[110:111], v[80:81], v[82:83]
	v_fma_f64 v[82:83], v[152:153], s[8:9], v[86:87]
	v_fma_f64 v[108:109], v[148:149], s[8:9], v[120:121]
	v_add_f64_e64 v[156:157], v[74:75], -v[72:73]
	v_add_f64_e64 v[154:155], v[64:65], -v[76:77]
	v_fma_f64 v[86:87], v[152:153], s[0:1], v[92:93]
	v_fma_f64 v[80:81], v[84:85], s[12:13], v[94:95]
	v_add_f64_e64 v[92:93], v[74:75], -v[68:69]
	v_add_f64_e64 v[94:95], v[72:73], -v[78:79]
	v_fma_f64 v[82:83], v[110:111], s[12:13], v[82:83]
	v_fma_f64 v[84:85], v[84:85], s[12:13], v[108:109]
	v_add_f64_e32 v[108:109], v[68:69], v[78:79]
	v_add_f64_e64 v[152:153], v[66:67], -v[70:71]
	v_fma_f64 v[86:87], v[110:111], s[12:13], v[86:87]
	v_add_f64_e32 v[110:111], v[64:65], v[76:77]
	v_add_f64_e32 v[120:121], v[92:93], v[94:95]
	v_add_f64_e64 v[92:93], v[66:67], -v[64:65]
	v_add_f64_e64 v[94:95], v[70:71], -v[76:77]
	s_delay_alu instid0(VALU_DEP_1) | instskip(SKIP_4) | instid1(VALU_DEP_2)
	v_add_f64_e32 v[130:131], v[92:93], v[94:95]
	ds_load_b128 v[92:95], v176 offset:5376
	s_wait_dscnt 0x0
	v_fma_f64 v[148:149], v[108:109], -0.5, v[92:93]
	v_fma_f64 v[150:151], v[110:111], -0.5, v[94:95]
	v_fma_f64 v[108:109], v[152:153], s[14:15], v[148:149]
	s_delay_alu instid0(VALU_DEP_2) | instskip(SKIP_2) | instid1(VALU_DEP_4)
	v_fma_f64 v[110:111], v[156:157], s[2:3], v[150:151]
	v_fma_f64 v[148:149], v[152:153], s[2:3], v[148:149]
	;; [unrolled: 1-line block ×4, first 2 shown]
	s_delay_alu instid0(VALU_DEP_4) | instskip(NEXT) | instid1(VALU_DEP_4)
	v_fma_f64 v[110:111], v[158:159], s[8:9], v[110:111]
	v_fma_f64 v[148:149], v[154:155], s[8:9], v[148:149]
	s_delay_alu instid0(VALU_DEP_4) | instskip(NEXT) | instid1(VALU_DEP_4)
	v_fma_f64 v[150:151], v[158:159], s[0:1], v[150:151]
	v_fma_f64 v[108:109], v[120:121], s[12:13], v[108:109]
	;; [unrolled: 3-line block ×3, first 2 shown]
	s_delay_alu instid0(VALU_DEP_4) | instskip(SKIP_2) | instid1(VALU_DEP_2)
	v_fma_f64 v[150:151], v[130:131], s[12:13], v[150:151]
	v_add_f64_e32 v[120:121], v[74:75], v[72:73]
	v_add_f64_e32 v[130:131], v[66:67], v[70:71]
	v_fma_f64 v[120:121], v[120:121], -0.5, v[92:93]
	s_delay_alu instid0(VALU_DEP_2)
	v_fma_f64 v[130:131], v[130:131], -0.5, v[94:95]
	v_add_f64_e32 v[92:93], v[92:93], v[68:69]
	v_add_f64_e32 v[94:95], v[94:95], v[64:65]
	v_add_f64_e64 v[68:69], v[68:69], -v[74:75]
	v_add_f64_e64 v[64:65], v[64:65], -v[66:67]
	v_fma_f64 v[160:161], v[154:155], s[2:3], v[120:121]
	v_fma_f64 v[120:121], v[154:155], s[14:15], v[120:121]
	v_add_f64_e32 v[92:93], v[92:93], v[74:75]
	v_add_f64_e32 v[74:75], v[94:95], v[66:67]
	v_add_f64_e64 v[94:95], v[78:79], -v[72:73]
	v_add_f64_e64 v[66:67], v[76:77], -v[70:71]
	s_delay_alu instid0(VALU_DEP_4) | instskip(NEXT) | instid1(VALU_DEP_4)
	v_add_f64_e32 v[92:93], v[92:93], v[72:73]
	v_add_f64_e32 v[74:75], v[74:75], v[70:71]
	v_fma_f64 v[70:71], v[158:159], s[14:15], v[130:131]
	v_add_f64_e32 v[68:69], v[68:69], v[94:95]
	v_add_f64_e32 v[94:95], v[64:65], v[66:67]
	v_add_f64_e32 v[72:73], v[92:93], v[78:79]
	v_add_f64_e32 v[74:75], v[74:75], v[76:77]
	v_fma_f64 v[76:77], v[158:159], s[2:3], v[130:131]
	v_fma_f64 v[78:79], v[152:153], s[0:1], v[160:161]
	;; [unrolled: 1-line block ×4, first 2 shown]
	s_mov_b32 s2, 0xec259dc8
	s_mov_b32 s3, 0x3f40b7e6
	s_delay_alu instid0(VALU_DEP_4) | instskip(NEXT) | instid1(VALU_DEP_4)
	v_fma_f64 v[70:71], v[156:157], s[0:1], v[76:77]
	v_fma_f64 v[64:65], v[68:69], s[12:13], v[78:79]
	s_delay_alu instid0(VALU_DEP_4) | instskip(NEXT) | instid1(VALU_DEP_4)
	v_fma_f64 v[66:67], v[94:95], s[12:13], v[66:67]
	v_fma_f64 v[68:69], v[68:69], s[12:13], v[92:93]
	s_delay_alu instid0(VALU_DEP_4)
	v_fma_f64 v[70:71], v[94:95], s[12:13], v[70:71]
	ds_store_b128 v176, v[16:19]
	ds_store_b128 v176, v[32:35] offset:896
	ds_store_b128 v176, v[12:15] offset:12544
	;; [unrolled: 1-line block ×34, first 2 shown]
	global_wb scope:SCOPE_SE
	s_wait_dscnt 0x0
	s_barrier_signal -1
	s_barrier_wait -1
	global_inv scope:SCOPE_SE
	s_clause 0x5
	scratch_load_b128 v[6:9], off, off offset:164 th:TH_LOAD_LU
	scratch_load_b128 v[38:41], off, off offset:180 th:TH_LOAD_LU
	;; [unrolled: 1-line block ×6, first 2 shown]
	ds_load_b128 v[2:5], v176
	s_clause 0xb
	scratch_load_b128 v[28:31], off, off offset:292 th:TH_LOAD_LU
	scratch_load_b128 v[78:81], off, off offset:436 th:TH_LOAD_LU
	scratch_load_b128 v[42:45], off, off offset:68 th:TH_LOAD_LU
	scratch_load_b128 v[46:49], off, off offset:52 th:TH_LOAD_LU
	scratch_load_b128 v[50:53], off, off offset:468 th:TH_LOAD_LU
	scratch_load_b128 v[74:77], off, off offset:452 th:TH_LOAD_LU
	scratch_load_b128 v[54:57], off, off offset:484 th:TH_LOAD_LU
	scratch_load_b128 v[58:61], off, off offset:500 th:TH_LOAD_LU
	scratch_load_b128 v[62:65], off, off offset:516 th:TH_LOAD_LU
	scratch_load_b128 v[66:69], off, off offset:532 th:TH_LOAD_LU
	scratch_load_b128 v[70:73], off, off offset:548 th:TH_LOAD_LU
	scratch_load_b128 v[34:37], off, off offset:100 th:TH_LOAD_LU
	s_wait_loadcnt_dscnt 0x1100
	v_mul_f64_e32 v[0:1], v[8:9], v[4:5]
	s_delay_alu instid0(VALU_DEP_1) | instskip(SKIP_1) | instid1(VALU_DEP_1)
	v_fma_f64 v[0:1], v[6:7], v[2:3], v[0:1]
	v_mul_f64_e32 v[2:3], v[8:9], v[2:3]
	v_fma_f64 v[2:3], v[6:7], v[4:5], -v[2:3]
	ds_load_b128 v[6:9], v176 offset:7840
	s_wait_loadcnt_dscnt 0xf00
	v_mul_f64_e32 v[4:5], v[12:13], v[8:9]
	s_delay_alu instid0(VALU_DEP_1) | instskip(SKIP_2) | instid1(VALU_DEP_2)
	v_fma_f64 v[4:5], v[10:11], v[6:7], v[4:5]
	v_mul_f64_e32 v[6:7], v[12:13], v[6:7]
	s_wait_alu 0xfffe
	v_mul_f64_e32 v[4:5], s[2:3], v[4:5]
	s_delay_alu instid0(VALU_DEP_2) | instskip(SKIP_4) | instid1(VALU_DEP_2)
	v_fma_f64 v[6:7], v[10:11], v[8:9], -v[6:7]
	ds_load_b128 v[10:13], v176 offset:15680
	s_wait_loadcnt_dscnt 0xe00
	v_mul_f64_e32 v[8:9], v[16:17], v[12:13]
	v_mul_f64_e32 v[6:7], s[2:3], v[6:7]
	v_fma_f64 v[8:9], v[14:15], v[10:11], v[8:9]
	v_mul_f64_e32 v[10:11], v[16:17], v[10:11]
	s_delay_alu instid0(VALU_DEP_1) | instskip(SKIP_3) | instid1(VALU_DEP_1)
	v_fma_f64 v[10:11], v[14:15], v[12:13], -v[10:11]
	ds_load_b128 v[14:17], v176 offset:23520
	s_wait_loadcnt_dscnt 0xd00
	v_mul_f64_e32 v[12:13], v[20:21], v[16:17]
	v_fma_f64 v[12:13], v[18:19], v[14:15], v[12:13]
	v_mul_f64_e32 v[14:15], v[20:21], v[14:15]
	s_delay_alu instid0(VALU_DEP_1) | instskip(SKIP_3) | instid1(VALU_DEP_1)
	v_fma_f64 v[14:15], v[18:19], v[16:17], -v[14:15]
	ds_load_b128 v[16:19], v176 offset:896
	s_wait_loadcnt_dscnt 0xc00
	v_mul_f64_e32 v[20:21], v[24:25], v[18:19]
	v_fma_f64 v[20:21], v[22:23], v[16:17], v[20:21]
	v_mul_f64_e32 v[16:17], v[24:25], v[16:17]
	ds_load_b128 v[24:27], v176 offset:8736
	v_fma_f64 v[22:23], v[22:23], v[18:19], -v[16:17]
	s_wait_loadcnt_dscnt 0xb00
	v_mul_f64_e32 v[16:17], v[30:31], v[26:27]
	v_mul_f64_e32 v[18:19], v[30:31], v[24:25]
	scratch_load_b128 v[30:33], off, off offset:84 th:TH_LOAD_LU ; 16-byte Folded Reload
	v_fma_f64 v[16:17], v[28:29], v[24:25], v[16:17]
	v_fma_f64 v[18:19], v[28:29], v[26:27], -v[18:19]
	ds_load_b128 v[24:27], v176 offset:16576
	s_wait_loadcnt_dscnt 0x0
	v_mul_f64_e32 v[28:29], v[32:33], v[26:27]
	s_delay_alu instid0(VALU_DEP_1) | instskip(SKIP_1) | instid1(VALU_DEP_1)
	v_fma_f64 v[28:29], v[30:31], v[24:25], v[28:29]
	v_mul_f64_e32 v[24:25], v[32:33], v[24:25]
	v_fma_f64 v[30:31], v[30:31], v[26:27], -v[24:25]
	ds_load_b128 v[24:27], v176 offset:24416
	s_wait_dscnt 0x0
	v_mul_f64_e32 v[32:33], v[36:37], v[26:27]
	s_delay_alu instid0(VALU_DEP_1) | instskip(SKIP_1) | instid1(VALU_DEP_1)
	v_fma_f64 v[32:33], v[34:35], v[24:25], v[32:33]
	v_mul_f64_e32 v[24:25], v[36:37], v[24:25]
	v_fma_f64 v[34:35], v[34:35], v[26:27], -v[24:25]
	ds_load_b128 v[24:27], v176 offset:1792
	s_wait_dscnt 0x0
	;; [unrolled: 7-line block ×12, first 2 shown]
	v_mul_f64_e32 v[76:77], v[80:81], v[26:27]
	s_delay_alu instid0(VALU_DEP_1) | instskip(SKIP_1) | instid1(VALU_DEP_1)
	v_fma_f64 v[76:77], v[78:79], v[24:25], v[76:77]
	v_mul_f64_e32 v[24:25], v[80:81], v[24:25]
	v_fma_f64 v[78:79], v[78:79], v[26:27], -v[24:25]
	scratch_load_b64 v[24:25], off, off offset:44 th:TH_LOAD_LU ; 8-byte Folded Reload
	v_mul_f64_e32 v[26:27], s[2:3], v[2:3]
	scratch_load_b32 v2, off, off th:TH_LOAD_LU ; 4-byte Folded Reload
	s_wait_loadcnt 0x1
	v_mov_b32_e32 v25, v24
	s_delay_alu instid0(VALU_DEP_1) | instskip(NEXT) | instid1(VALU_DEP_1)
	v_mad_co_u64_u32 v[80:81], null, s6, v25, 0
	v_mov_b32_e32 v24, v81
	s_delay_alu instid0(VALU_DEP_1) | instskip(NEXT) | instid1(VALU_DEP_1)
	v_mad_co_u64_u32 v[24:25], null, s7, v25, v[24:25]
	v_mov_b32_e32 v81, v24
	v_mul_f64_e32 v[24:25], s[2:3], v[0:1]
	s_wait_loadcnt 0x0
	v_mad_co_u64_u32 v[0:1], null, s4, v2, 0
	s_delay_alu instid0(VALU_DEP_1)
	v_mad_co_u64_u32 v[1:2], null, s5, v2, v[1:2]
	v_lshlrev_b64_e32 v[2:3], 4, v[80:81]
	scratch_load_b128 v[80:83], off, off offset:148 th:TH_LOAD_LU ; 16-byte Folded Reload
	v_lshlrev_b64_e32 v[0:1], 4, v[0:1]
	v_add_co_u32 v2, s0, s10, v2
	s_wait_alu 0xf1ff
	v_add_co_ci_u32_e64 v3, s0, s11, v3, s0
	s_delay_alu instid0(VALU_DEP_2) | instskip(SKIP_1) | instid1(VALU_DEP_2)
	v_add_co_u32 v0, s0, v2, v0
	s_wait_alu 0xf1ff
	v_add_co_ci_u32_e64 v1, s0, v3, v1, s0
	s_mul_u64 s[0:1], s[4:5], 0x1ea
	s_wait_alu 0xfffe
	s_lshl_b64 s[6:7], s[0:1], 4
	global_store_b128 v[0:1], v[24:27], off
	s_wait_alu 0xfffe
	v_add_co_u32 v0, s0, v0, s6
	s_wait_alu 0xf1ff
	v_add_co_ci_u32_e64 v1, s0, s7, v1, s0
	v_mul_f64_e32 v[24:25], s[2:3], v[56:57]
	v_mul_f64_e32 v[26:27], s[2:3], v[58:59]
	global_store_b128 v[0:1], v[4:7], off
	v_mul_f64_e32 v[4:5], s[2:3], v[8:9]
	v_mul_f64_e32 v[6:7], s[2:3], v[10:11]
	v_add_co_u32 v0, s0, v0, s6
	s_wait_alu 0xf1ff
	v_add_co_ci_u32_e64 v1, s0, s7, v1, s0
	v_mul_f64_e32 v[8:9], s[2:3], v[32:33]
	v_mul_f64_e32 v[10:11], s[2:3], v[34:35]
	global_store_b128 v[0:1], v[4:7], off
	v_mul_f64_e32 v[4:5], s[2:3], v[12:13]
	v_mul_f64_e32 v[6:7], s[2:3], v[14:15]
	v_add_co_u32 v0, s0, v0, s6
	s_wait_alu 0xf1ff
	v_add_co_ci_u32_e64 v1, s0, s7, v1, s0
	s_movk_i32 s0, 0xa7a0
	s_mov_b32 s1, -1
	v_mul_f64_e32 v[12:13], s[2:3], v[36:37]
	s_wait_alu 0xfffe
	s_mul_u64 s[8:9], s[4:5], s[0:1]
	v_mul_f64_e32 v[14:15], s[2:3], v[38:39]
	scratch_load_b128 v[36:39], off, off offset:420 th:TH_LOAD_LU ; 16-byte Folded Reload
	global_store_b128 v[0:1], v[4:7], off
	v_mul_f64_e32 v[4:5], s[2:3], v[20:21]
	v_mul_f64_e32 v[6:7], s[2:3], v[22:23]
	s_wait_alu 0xfffe
	v_add_co_u32 v0, s0, v0, s8
	s_wait_alu 0xf1ff
	v_add_co_ci_u32_e64 v1, s0, s9, v1, s0
	v_mul_f64_e32 v[20:21], s[2:3], v[48:49]
	v_mul_f64_e32 v[22:23], s[2:3], v[50:51]
	global_store_b128 v[0:1], v[4:7], off
	v_mul_f64_e32 v[4:5], s[2:3], v[16:17]
	v_mul_f64_e32 v[6:7], s[2:3], v[18:19]
	v_add_co_u32 v0, s0, v0, s6
	s_wait_alu 0xf1ff
	v_add_co_ci_u32_e64 v1, s0, s7, v1, s0
	v_mul_f64_e32 v[16:17], s[2:3], v[40:41]
	v_mul_f64_e32 v[18:19], s[2:3], v[42:43]
	global_store_b128 v[0:1], v[4:7], off
	v_mul_f64_e32 v[4:5], s[2:3], v[28:29]
	v_mul_f64_e32 v[6:7], s[2:3], v[30:31]
	v_add_co_u32 v0, s0, v0, s6
	s_wait_alu 0xf1ff
	v_add_co_ci_u32_e64 v1, s0, s7, v1, s0
	v_mul_f64_e32 v[28:29], s[2:3], v[60:61]
	v_mul_f64_e32 v[30:31], s[2:3], v[62:63]
	global_store_b128 v[0:1], v[4:7], off
	v_add_co_u32 v0, s0, v0, s6
	s_wait_alu 0xf1ff
	v_add_co_ci_u32_e64 v1, s0, s7, v1, s0
	ds_load_b128 v[4:7], v176 offset:27104
	global_store_b128 v[0:1], v[8:11], off
	v_add_co_u32 v0, s0, v0, s8
	s_wait_alu 0xf1ff
	v_add_co_ci_u32_e64 v1, s0, s9, v1, s0
	ds_load_b128 v[8:11], v176 offset:4480
	global_store_b128 v[0:1], v[12:15], off
	v_add_co_u32 v0, s0, v0, s6
	s_wait_alu 0xf1ff
	v_add_co_ci_u32_e64 v1, s0, s7, v1, s0
	v_mul_f64_e32 v[12:13], s[2:3], v[44:45]
	v_mul_f64_e32 v[14:15], s[2:3], v[46:47]
	global_store_b128 v[0:1], v[16:19], off
	v_mul_f64_e32 v[18:19], s[2:3], v[54:55]
	scratch_load_b128 v[54:57], off, off offset:404 th:TH_LOAD_LU ; 16-byte Folded Reload
	v_add_co_u32 v0, s0, v0, s6
	s_wait_alu 0xf1ff
	v_add_co_ci_u32_e64 v1, s0, s7, v1, s0
	v_mul_f64_e32 v[16:17], s[2:3], v[52:53]
	global_store_b128 v[0:1], v[12:15], off
	ds_load_b128 v[12:15], v176 offset:12320
	v_add_co_u32 v0, s0, v0, s6
	s_wait_alu 0xf1ff
	v_add_co_ci_u32_e64 v1, s0, s7, v1, s0
	global_store_b128 v[0:1], v[20:23], off
	v_add_co_u32 v0, s0, v0, s8
	s_wait_alu 0xf1ff
	v_add_co_ci_u32_e64 v1, s0, s9, v1, s0
	v_mul_f64_e32 v[20:21], s[2:3], v[68:69]
	s_delay_alu instid0(VALU_DEP_3) | instskip(SKIP_1) | instid1(VALU_DEP_3)
	v_add_co_u32 v48, s0, v0, s6
	s_wait_alu 0xf1ff
	v_add_co_ci_u32_e64 v49, s0, s7, v1, s0
	v_mul_f64_e32 v[22:23], s[2:3], v[70:71]
	s_delay_alu instid0(VALU_DEP_3) | instskip(SKIP_1) | instid1(VALU_DEP_3)
	v_add_co_u32 v50, s0, v48, s6
	s_wait_alu 0xf1ff
	v_add_co_ci_u32_e64 v51, s0, s7, v49, s0
	s_wait_loadcnt_dscnt 0x102
	v_mul_f64_e32 v[32:33], v[38:39], v[6:7]
	v_mul_f64_e32 v[34:35], v[38:39], v[4:5]
	s_delay_alu instid0(VALU_DEP_2) | instskip(NEXT) | instid1(VALU_DEP_2)
	v_fma_f64 v[44:45], v[36:37], v[4:5], v[32:33]
	v_fma_f64 v[46:47], v[36:37], v[6:7], -v[34:35]
	ds_load_b128 v[4:7], v176 offset:20160
	ds_load_b128 v[36:39], v176 offset:28000
	v_mul_f64_e32 v[32:33], s[2:3], v[64:65]
	v_mul_f64_e32 v[34:35], s[2:3], v[66:67]
	v_mul_f64_e32 v[44:45], s[2:3], v[44:45]
	v_mul_f64_e32 v[46:47], s[2:3], v[46:47]
	s_wait_loadcnt_dscnt 0x3
	v_mul_f64_e32 v[40:41], v[56:57], v[10:11]
	v_mul_f64_e32 v[42:43], v[56:57], v[8:9]
	s_delay_alu instid0(VALU_DEP_2) | instskip(NEXT) | instid1(VALU_DEP_2)
	v_fma_f64 v[52:53], v[54:55], v[8:9], v[40:41]
	v_fma_f64 v[54:55], v[54:55], v[10:11], -v[42:43]
	ds_load_b128 v[8:11], v176 offset:5376
	global_store_b128 v[0:1], v[16:19], off
	global_store_b128 v[48:49], v[24:27], off
	s_wait_dscnt 0x3
	v_mul_f64_e32 v[40:41], v[82:83], v[14:15]
	v_mul_f64_e32 v[42:43], v[82:83], v[12:13]
	s_clause 0x1
	scratch_load_b128 v[82:85], off, off offset:212 th:TH_LOAD_LU
	scratch_load_b128 v[88:91], off, off offset:260 th:TH_LOAD_LU
	ds_load_b128 v[16:19], v176 offset:13216
	v_add_co_u32 v24, s0, v50, s6
	s_wait_alu 0xf1ff
	v_add_co_ci_u32_e64 v25, s0, s7, v51, s0
	global_store_b128 v[50:51], v[28:31], off
	v_add_co_u32 v28, s0, v24, s8
	s_wait_alu 0xf1ff
	v_add_co_ci_u32_e64 v29, s0, s9, v25, s0
	global_store_b128 v[24:25], v[32:35], off
	v_mul_f64_e32 v[24:25], s[2:3], v[72:73]
	v_add_co_u32 v72, s0, v28, s6
	global_store_b128 v[28:29], v[20:23], off
	s_wait_alu 0xf1ff
	v_add_co_ci_u32_e64 v73, s0, s7, v29, s0
	ds_load_b128 v[28:31], v176 offset:6272
	ds_load_b128 v[20:23], v176 offset:21056
	v_mul_f64_e32 v[26:27], s[2:3], v[74:75]
	v_mul_f64_e32 v[32:33], s[2:3], v[76:77]
	;; [unrolled: 1-line block ×4, first 2 shown]
	v_fma_f64 v[68:69], v[80:81], v[12:13], v[40:41]
	v_fma_f64 v[70:71], v[80:81], v[14:15], -v[42:43]
	ds_load_b128 v[12:15], v176 offset:28896
	ds_load_b128 v[40:43], v176 offset:21952
	global_store_b128 v[72:73], v[24:27], off
	v_add_co_u32 v26, s0, v72, s6
	s_wait_alu 0xf1ff
	v_add_co_ci_u32_e64 v27, s0, s7, v73, s0
	global_store_b128 v[26:27], v[32:35], off
	v_add_co_u32 v26, s0, v26, s6
	s_wait_alu 0xf1ff
	v_add_co_ci_u32_e64 v27, s0, s7, v27, s0
	s_delay_alu instid0(VALU_DEP_2) | instskip(SKIP_1) | instid1(VALU_DEP_2)
	v_add_co_u32 v32, s0, v26, s8
	s_wait_alu 0xf1ff
	v_add_co_ci_u32_e64 v33, s0, s9, v27, s0
	s_wait_loadcnt_dscnt 0x107
	v_mul_f64_e32 v[0:1], v[84:85], v[6:7]
	v_mul_f64_e32 v[48:49], v[84:85], v[4:5]
	s_wait_loadcnt_dscnt 0x6
	v_mul_f64_e32 v[56:57], v[90:91], v[38:39]
	v_mul_f64_e32 v[58:59], v[90:91], v[36:37]
	s_clause 0x1
	scratch_load_b128 v[84:87], off, off offset:244 th:TH_LOAD_LU
	scratch_load_b128 v[90:93], off, off offset:276 th:TH_LOAD_LU
	v_fma_f64 v[0:1], v[82:83], v[4:5], v[0:1]
	v_fma_f64 v[74:75], v[82:83], v[6:7], -v[48:49]
	v_fma_f64 v[56:57], v[88:89], v[36:37], v[56:57]
	v_fma_f64 v[58:59], v[88:89], v[38:39], -v[58:59]
	ds_load_b128 v[4:7], v176 offset:14112
	v_mul_f64_e32 v[48:49], s[2:3], v[52:53]
	ds_load_b128 v[36:39], v176 offset:29792
	s_wait_loadcnt_dscnt 0x107
	v_mul_f64_e32 v[60:61], v[86:87], v[10:11]
	v_mul_f64_e32 v[62:63], v[86:87], v[8:9]
	s_wait_loadcnt_dscnt 0x6
	v_mul_f64_e32 v[64:65], v[92:93], v[18:19]
	v_mul_f64_e32 v[66:67], v[92:93], v[16:17]
	s_clause 0x1
	scratch_load_b128 v[86:89], off, off offset:308 th:TH_LOAD_LU
	scratch_load_b128 v[92:95], off, off offset:324 th:TH_LOAD_LU
	v_fma_f64 v[60:61], v[84:85], v[8:9], v[60:61]
	v_fma_f64 v[62:63], v[84:85], v[10:11], -v[62:63]
	v_fma_f64 v[64:65], v[90:91], v[16:17], v[64:65]
	v_fma_f64 v[66:67], v[90:91], v[18:19], -v[66:67]
	s_wait_loadcnt_dscnt 0x104
	v_mul_f64_e32 v[52:53], v[88:89], v[22:23]
	s_wait_loadcnt_dscnt 0x3
	v_mul_f64_e32 v[8:9], v[94:95], v[14:15]
	v_mul_f64_e32 v[10:11], v[94:95], v[12:13]
	scratch_load_b128 v[94:97], off, off offset:340 th:TH_LOAD_LU ; 16-byte Folded Reload
	v_mul_f64_e32 v[54:55], v[88:89], v[20:21]
	scratch_load_b128 v[88:91], off, off offset:356 th:TH_LOAD_LU ; 16-byte Folded Reload
	v_fma_f64 v[34:35], v[86:87], v[22:23], -v[54:55]
	v_mul_f64_e32 v[22:23], s[2:3], v[66:67]
	s_wait_loadcnt 0x1
	v_mul_f64_e32 v[76:77], v[96:97], v[30:31]
	v_mul_f64_e32 v[78:79], v[96:97], v[28:29]
	scratch_load_b128 v[96:99], off, off offset:372 th:TH_LOAD_LU ; 16-byte Folded Reload
	s_wait_loadcnt_dscnt 0x101
	v_mul_f64_e32 v[16:17], v[90:91], v[6:7]
	v_mul_f64_e32 v[18:19], v[90:91], v[4:5]
	s_delay_alu instid0(VALU_DEP_1)
	v_fma_f64 v[54:55], v[88:89], v[6:7], -v[18:19]
	v_mul_f64_e32 v[6:7], s[2:3], v[70:71]
	v_mul_f64_e32 v[18:19], s[2:3], v[62:63]
	s_wait_loadcnt 0x0
	v_mul_f64_e32 v[80:81], v[98:99], v[42:43]
	v_mul_f64_e32 v[82:83], v[98:99], v[40:41]
	scratch_load_b128 v[98:101], off, off offset:388 th:TH_LOAD_LU ; 16-byte Folded Reload
	global_store_b128 v[26:27], v[44:47], off
	global_store_b128 v[32:33], v[48:51], off
	v_fma_f64 v[26:27], v[86:87], v[20:21], v[52:53]
	v_fma_f64 v[44:45], v[92:93], v[12:13], v[8:9]
	v_fma_f64 v[46:47], v[92:93], v[14:15], -v[10:11]
	v_fma_f64 v[48:49], v[94:95], v[28:29], v[76:77]
	v_fma_f64 v[50:51], v[94:95], v[30:31], -v[78:79]
	v_fma_f64 v[52:53], v[88:89], v[4:5], v[16:17]
	v_mul_f64_e32 v[4:5], s[2:3], v[68:69]
	v_mul_f64_e32 v[8:9], s[2:3], v[0:1]
	;; [unrolled: 1-line block ×3, first 2 shown]
	v_add_co_u32 v68, s0, v32, s6
	s_wait_alu 0xf1ff
	v_add_co_ci_u32_e64 v69, s0, s7, v33, s0
	v_mul_f64_e32 v[12:13], s[2:3], v[56:57]
	s_delay_alu instid0(VALU_DEP_3) | instskip(SKIP_1) | instid1(VALU_DEP_3)
	v_add_co_u32 v0, s0, v68, s6
	s_wait_alu 0xf1ff
	v_add_co_ci_u32_e64 v1, s0, s7, v69, s0
	v_mul_f64_e32 v[14:15], s[2:3], v[58:59]
	s_delay_alu instid0(VALU_DEP_3) | instskip(SKIP_1) | instid1(VALU_DEP_3)
	;; [unrolled: 5-line block ×3, first 2 shown]
	v_add_co_u32 v58, s0, v56, s8
	s_wait_alu 0xf1ff
	v_add_co_ci_u32_e64 v59, s0, s9, v57, s0
	v_mul_f64_e32 v[20:21], s[2:3], v[64:65]
	v_fma_f64 v[40:41], v[96:97], v[40:41], v[80:81]
	v_fma_f64 v[42:43], v[96:97], v[42:43], -v[82:83]
	v_mul_f64_e32 v[28:29], s[2:3], v[44:45]
	v_mul_f64_e32 v[30:31], s[2:3], v[46:47]
	;; [unrolled: 1-line block ×3, first 2 shown]
	v_add_co_u32 v48, s0, v58, s6
	s_wait_alu 0xf1ff
	v_add_co_ci_u32_e64 v49, s0, s7, v59, s0
	global_store_b128 v[68:69], v[4:7], off
	v_add_co_u32 v4, s0, v48, s6
	s_wait_alu 0xf1ff
	v_add_co_ci_u32_e64 v5, s0, s7, v49, s0
	global_store_b128 v[0:1], v[8:11], off
	;; [unrolled: 4-line block ×5, first 2 shown]
	v_add_co_u32 v12, s0, v10, s6
	s_wait_alu 0xf1ff
	v_add_co_ci_u32_e64 v13, s0, s7, v11, s0
	v_mul_f64_e32 v[40:41], s[2:3], v[40:41]
	v_mul_f64_e32 v[42:43], s[2:3], v[42:43]
	v_add_co_u32 v0, s0, v12, s6
	s_wait_alu 0xf1ff
	v_add_co_ci_u32_e64 v1, s0, s7, v13, s0
	s_wait_loadcnt_dscnt 0x0
	v_mul_f64_e32 v[24:25], v[100:101], v[38:39]
	v_mul_f64_e32 v[72:73], v[100:101], v[36:37]
	s_delay_alu instid0(VALU_DEP_2) | instskip(NEXT) | instid1(VALU_DEP_2)
	v_fma_f64 v[76:77], v[98:99], v[36:37], v[24:25]
	v_fma_f64 v[72:73], v[98:99], v[38:39], -v[72:73]
	v_mul_f64_e32 v[24:25], s[2:3], v[26:27]
	v_mul_f64_e32 v[26:27], s[2:3], v[34:35]
	;; [unrolled: 1-line block ×7, first 2 shown]
	global_store_b128 v[4:5], v[24:27], off
	global_store_b128 v[6:7], v[28:31], off
	;; [unrolled: 1-line block ×6, first 2 shown]
	s_and_b32 exec_lo, exec_lo, vcc_lo
	s_cbranch_execz .LBB0_23
; %bb.22:
	scratch_load_b64 v[18:19], off, off offset:12 th:TH_LOAD_LU ; 8-byte Folded Reload
	s_mul_i32 s0, s5, 0xffffc640
	s_wait_alu 0xfffe
	s_sub_co_i32 s0, s0, s4
	s_wait_loadcnt 0x0
	global_load_b128 v[4:7], v[18:19], off offset:7168
	ds_load_b128 v[8:11], v176 offset:7168
	ds_load_b128 v[12:15], v176 offset:15008
	s_wait_loadcnt_dscnt 0x1
	v_mul_f64_e32 v[16:17], v[10:11], v[6:7]
	v_mul_f64_e32 v[6:7], v[8:9], v[6:7]
	s_delay_alu instid0(VALU_DEP_2) | instskip(NEXT) | instid1(VALU_DEP_2)
	v_fma_f64 v[8:9], v[8:9], v[4:5], v[16:17]
	v_fma_f64 v[6:7], v[4:5], v[10:11], -v[6:7]
	scratch_load_b64 v[4:5], off, off offset:4 th:TH_LOAD_LU ; 8-byte Folded Reload
	v_mul_f64_e32 v[6:7], s[2:3], v[6:7]
	s_wait_loadcnt 0x0
	v_mov_b32_e32 v16, v4
	v_mul_f64_e32 v[4:5], s[2:3], v[8:9]
	s_delay_alu instid0(VALU_DEP_2) | instskip(NEXT) | instid1(VALU_DEP_1)
	v_mad_co_u64_u32 v[10:11], null, s4, v16, 0
	v_mov_b32_e32 v8, v11
	s_delay_alu instid0(VALU_DEP_1) | instskip(NEXT) | instid1(VALU_DEP_1)
	v_mad_co_u64_u32 v[8:9], null, s5, v16, v[8:9]
	v_mov_b32_e32 v11, v8
	s_delay_alu instid0(VALU_DEP_1) | instskip(NEXT) | instid1(VALU_DEP_1)
	v_lshlrev_b64_e32 v[8:9], 4, v[10:11]
	v_add_co_u32 v2, vcc_lo, v2, v8
	s_wait_alu 0xfffd
	s_delay_alu instid0(VALU_DEP_2)
	v_add_co_ci_u32_e32 v3, vcc_lo, v3, v9, vcc_lo
	global_store_b128 v[2:3], v[4:7], off
	global_load_b128 v[2:5], v[18:19], off offset:15008
	s_wait_loadcnt_dscnt 0x0
	v_mul_f64_e32 v[6:7], v[14:15], v[4:5]
	v_mul_f64_e32 v[4:5], v[12:13], v[4:5]
	s_delay_alu instid0(VALU_DEP_2) | instskip(NEXT) | instid1(VALU_DEP_2)
	v_fma_f64 v[6:7], v[12:13], v[2:3], v[6:7]
	v_fma_f64 v[4:5], v[2:3], v[14:15], -v[4:5]
	v_mad_co_u64_u32 v[12:13], null, 0xffffc640, s4, v[0:1]
	s_wait_alu 0xfffe
	s_delay_alu instid0(VALU_DEP_1) | instskip(NEXT) | instid1(VALU_DEP_4)
	v_add_nc_u32_e32 v13, s0, v13
	v_mul_f64_e32 v[2:3], s[2:3], v[6:7]
	s_delay_alu instid0(VALU_DEP_4)
	v_mul_f64_e32 v[4:5], s[2:3], v[4:5]
	global_store_b128 v[12:13], v[2:5], off
	global_load_b128 v[0:3], v[18:19], off offset:22848
	ds_load_b128 v[4:7], v176 offset:22848
	ds_load_b128 v[8:11], v176 offset:30688
	s_wait_loadcnt_dscnt 0x1
	v_mul_f64_e32 v[14:15], v[6:7], v[2:3]
	v_mul_f64_e32 v[2:3], v[4:5], v[2:3]
	s_delay_alu instid0(VALU_DEP_2) | instskip(NEXT) | instid1(VALU_DEP_2)
	v_fma_f64 v[4:5], v[4:5], v[0:1], v[14:15]
	v_fma_f64 v[2:3], v[0:1], v[6:7], -v[2:3]
	s_delay_alu instid0(VALU_DEP_2) | instskip(NEXT) | instid1(VALU_DEP_2)
	v_mul_f64_e32 v[0:1], s[2:3], v[4:5]
	v_mul_f64_e32 v[2:3], s[2:3], v[2:3]
	v_add_co_u32 v4, vcc_lo, v12, s6
	s_wait_alu 0xfffd
	v_add_co_ci_u32_e32 v5, vcc_lo, s7, v13, vcc_lo
	global_store_b128 v[4:5], v[0:3], off
	global_load_b128 v[0:3], v[18:19], off offset:30688
	v_add_co_u32 v4, vcc_lo, v4, s6
	s_wait_alu 0xfffd
	v_add_co_ci_u32_e32 v5, vcc_lo, s7, v5, vcc_lo
	s_wait_loadcnt_dscnt 0x0
	v_mul_f64_e32 v[6:7], v[10:11], v[2:3]
	v_mul_f64_e32 v[2:3], v[8:9], v[2:3]
	s_delay_alu instid0(VALU_DEP_2) | instskip(NEXT) | instid1(VALU_DEP_2)
	v_fma_f64 v[6:7], v[8:9], v[0:1], v[6:7]
	v_fma_f64 v[2:3], v[0:1], v[10:11], -v[2:3]
	s_delay_alu instid0(VALU_DEP_2) | instskip(NEXT) | instid1(VALU_DEP_2)
	v_mul_f64_e32 v[0:1], s[2:3], v[6:7]
	v_mul_f64_e32 v[2:3], s[2:3], v[2:3]
	global_store_b128 v[4:5], v[0:3], off
.LBB0_23:
	s_nop 0
	s_sendmsg sendmsg(MSG_DEALLOC_VGPRS)
	s_endpgm
	.section	.rodata,"a",@progbits
	.p2align	6, 0x0
	.amdhsa_kernel bluestein_single_fwd_len1960_dim1_dp_op_CI_CI
		.amdhsa_group_segment_fixed_size 31360
		.amdhsa_private_segment_fixed_size 1748
		.amdhsa_kernarg_size 104
		.amdhsa_user_sgpr_count 2
		.amdhsa_user_sgpr_dispatch_ptr 0
		.amdhsa_user_sgpr_queue_ptr 0
		.amdhsa_user_sgpr_kernarg_segment_ptr 1
		.amdhsa_user_sgpr_dispatch_id 0
		.amdhsa_user_sgpr_private_segment_size 0
		.amdhsa_wavefront_size32 1
		.amdhsa_uses_dynamic_stack 0
		.amdhsa_enable_private_segment 1
		.amdhsa_system_sgpr_workgroup_id_x 1
		.amdhsa_system_sgpr_workgroup_id_y 0
		.amdhsa_system_sgpr_workgroup_id_z 0
		.amdhsa_system_sgpr_workgroup_info 0
		.amdhsa_system_vgpr_workitem_id 0
		.amdhsa_next_free_vgpr 256
		.amdhsa_next_free_sgpr 32
		.amdhsa_reserve_vcc 1
		.amdhsa_float_round_mode_32 0
		.amdhsa_float_round_mode_16_64 0
		.amdhsa_float_denorm_mode_32 3
		.amdhsa_float_denorm_mode_16_64 3
		.amdhsa_fp16_overflow 0
		.amdhsa_workgroup_processor_mode 1
		.amdhsa_memory_ordered 1
		.amdhsa_forward_progress 0
		.amdhsa_round_robin_scheduling 0
		.amdhsa_exception_fp_ieee_invalid_op 0
		.amdhsa_exception_fp_denorm_src 0
		.amdhsa_exception_fp_ieee_div_zero 0
		.amdhsa_exception_fp_ieee_overflow 0
		.amdhsa_exception_fp_ieee_underflow 0
		.amdhsa_exception_fp_ieee_inexact 0
		.amdhsa_exception_int_div_zero 0
	.end_amdhsa_kernel
	.text
.Lfunc_end0:
	.size	bluestein_single_fwd_len1960_dim1_dp_op_CI_CI, .Lfunc_end0-bluestein_single_fwd_len1960_dim1_dp_op_CI_CI
                                        ; -- End function
	.section	.AMDGPU.csdata,"",@progbits
; Kernel info:
; codeLenInByte = 50096
; NumSgprs: 34
; NumVgprs: 256
; ScratchSize: 1748
; MemoryBound: 0
; FloatMode: 240
; IeeeMode: 1
; LDSByteSize: 31360 bytes/workgroup (compile time only)
; SGPRBlocks: 4
; VGPRBlocks: 31
; NumSGPRsForWavesPerEU: 34
; NumVGPRsForWavesPerEU: 256
; Occupancy: 2
; WaveLimiterHint : 1
; COMPUTE_PGM_RSRC2:SCRATCH_EN: 1
; COMPUTE_PGM_RSRC2:USER_SGPR: 2
; COMPUTE_PGM_RSRC2:TRAP_HANDLER: 0
; COMPUTE_PGM_RSRC2:TGID_X_EN: 1
; COMPUTE_PGM_RSRC2:TGID_Y_EN: 0
; COMPUTE_PGM_RSRC2:TGID_Z_EN: 0
; COMPUTE_PGM_RSRC2:TIDIG_COMP_CNT: 0
	.text
	.p2alignl 7, 3214868480
	.fill 96, 4, 3214868480
	.type	__hip_cuid_c70eacfa89a23761,@object ; @__hip_cuid_c70eacfa89a23761
	.section	.bss,"aw",@nobits
	.globl	__hip_cuid_c70eacfa89a23761
__hip_cuid_c70eacfa89a23761:
	.byte	0                               ; 0x0
	.size	__hip_cuid_c70eacfa89a23761, 1

	.ident	"AMD clang version 19.0.0git (https://github.com/RadeonOpenCompute/llvm-project roc-6.4.0 25133 c7fe45cf4b819c5991fe208aaa96edf142730f1d)"
	.section	".note.GNU-stack","",@progbits
	.addrsig
	.addrsig_sym __hip_cuid_c70eacfa89a23761
	.amdgpu_metadata
---
amdhsa.kernels:
  - .args:
      - .actual_access:  read_only
        .address_space:  global
        .offset:         0
        .size:           8
        .value_kind:     global_buffer
      - .actual_access:  read_only
        .address_space:  global
        .offset:         8
        .size:           8
        .value_kind:     global_buffer
      - .actual_access:  read_only
        .address_space:  global
        .offset:         16
        .size:           8
        .value_kind:     global_buffer
      - .actual_access:  read_only
        .address_space:  global
        .offset:         24
        .size:           8
        .value_kind:     global_buffer
      - .actual_access:  read_only
        .address_space:  global
        .offset:         32
        .size:           8
        .value_kind:     global_buffer
      - .offset:         40
        .size:           8
        .value_kind:     by_value
      - .address_space:  global
        .offset:         48
        .size:           8
        .value_kind:     global_buffer
      - .address_space:  global
        .offset:         56
        .size:           8
        .value_kind:     global_buffer
      - .address_space:  global
        .offset:         64
        .size:           8
        .value_kind:     global_buffer
      - .address_space:  global
        .offset:         72
        .size:           8
        .value_kind:     global_buffer
      - .offset:         80
        .size:           4
        .value_kind:     by_value
      - .address_space:  global
        .offset:         88
        .size:           8
        .value_kind:     global_buffer
      - .address_space:  global
        .offset:         96
        .size:           8
        .value_kind:     global_buffer
    .group_segment_fixed_size: 31360
    .kernarg_segment_align: 8
    .kernarg_segment_size: 104
    .language:       OpenCL C
    .language_version:
      - 2
      - 0
    .max_flat_workgroup_size: 56
    .name:           bluestein_single_fwd_len1960_dim1_dp_op_CI_CI
    .private_segment_fixed_size: 1748
    .sgpr_count:     34
    .sgpr_spill_count: 0
    .symbol:         bluestein_single_fwd_len1960_dim1_dp_op_CI_CI.kd
    .uniform_work_group_size: 1
    .uses_dynamic_stack: false
    .vgpr_count:     256
    .vgpr_spill_count: 464
    .wavefront_size: 32
    .workgroup_processor_mode: 1
amdhsa.target:   amdgcn-amd-amdhsa--gfx1201
amdhsa.version:
  - 1
  - 2
...

	.end_amdgpu_metadata
